;; amdgpu-corpus repo=ROCm/rocFFT kind=compiled arch=gfx950 opt=O3
	.text
	.amdgcn_target "amdgcn-amd-amdhsa--gfx950"
	.amdhsa_code_object_version 6
	.protected	fft_rtc_back_len1755_factors_13_3_3_3_5_wgs_117_tpt_117_halfLds_sp_ip_CI_sbrr_dirReg ; -- Begin function fft_rtc_back_len1755_factors_13_3_3_3_5_wgs_117_tpt_117_halfLds_sp_ip_CI_sbrr_dirReg
	.globl	fft_rtc_back_len1755_factors_13_3_3_3_5_wgs_117_tpt_117_halfLds_sp_ip_CI_sbrr_dirReg
	.p2align	8
	.type	fft_rtc_back_len1755_factors_13_3_3_3_5_wgs_117_tpt_117_halfLds_sp_ip_CI_sbrr_dirReg,@function
fft_rtc_back_len1755_factors_13_3_3_3_5_wgs_117_tpt_117_halfLds_sp_ip_CI_sbrr_dirReg: ; @fft_rtc_back_len1755_factors_13_3_3_3_5_wgs_117_tpt_117_halfLds_sp_ip_CI_sbrr_dirReg
; %bb.0:
	s_load_dwordx2 s[12:13], s[0:1], 0x18
	s_load_dwordx4 s[4:7], s[0:1], 0x0
	s_load_dwordx2 s[10:11], s[0:1], 0x50
	v_mul_u32_u24_e32 v1, 0x231, v0
	v_add_u32_sdwa v6, s2, v1 dst_sel:DWORD dst_unused:UNUSED_PAD src0_sel:DWORD src1_sel:WORD_1
	s_waitcnt lgkmcnt(0)
	s_load_dwordx2 s[8:9], s[12:13], 0x0
	v_mov_b32_e32 v4, 0
	v_cmp_lt_u64_e64 s[2:3], s[6:7], 2
	v_mov_b32_e32 v7, v4
	s_and_b64 vcc, exec, s[2:3]
	v_mov_b64_e32 v[2:3], 0
	s_cbranch_vccnz .LBB0_8
; %bb.1:
	s_load_dwordx2 s[2:3], s[0:1], 0x10
	s_add_u32 s14, s12, 8
	s_addc_u32 s15, s13, 0
	s_mov_b64 s[16:17], 1
	v_mov_b64_e32 v[2:3], 0
	s_waitcnt lgkmcnt(0)
	s_add_u32 s18, s2, 8
	s_addc_u32 s19, s3, 0
.LBB0_2:                                ; =>This Inner Loop Header: Depth=1
	s_load_dwordx2 s[20:21], s[18:19], 0x0
                                        ; implicit-def: $vgpr8_vgpr9
	s_waitcnt lgkmcnt(0)
	v_or_b32_e32 v5, s21, v7
	v_cmp_ne_u64_e32 vcc, 0, v[4:5]
	s_and_saveexec_b64 s[2:3], vcc
	s_xor_b64 s[22:23], exec, s[2:3]
	s_cbranch_execz .LBB0_4
; %bb.3:                                ;   in Loop: Header=BB0_2 Depth=1
	v_cvt_f32_u32_e32 v1, s20
	v_cvt_f32_u32_e32 v5, s21
	s_sub_u32 s2, 0, s20
	s_subb_u32 s3, 0, s21
	v_fmac_f32_e32 v1, 0x4f800000, v5
	v_rcp_f32_e32 v1, v1
	s_nop 0
	v_mul_f32_e32 v1, 0x5f7ffffc, v1
	v_mul_f32_e32 v5, 0x2f800000, v1
	v_trunc_f32_e32 v5, v5
	v_fmac_f32_e32 v1, 0xcf800000, v5
	v_cvt_u32_f32_e32 v5, v5
	v_cvt_u32_f32_e32 v1, v1
	v_mul_lo_u32 v8, s2, v5
	v_mul_hi_u32 v10, s2, v1
	v_mul_lo_u32 v9, s3, v1
	v_add_u32_e32 v10, v10, v8
	v_mul_lo_u32 v12, s2, v1
	v_add_u32_e32 v13, v10, v9
	v_mul_hi_u32 v8, v1, v12
	v_mul_hi_u32 v11, v1, v13
	v_mul_lo_u32 v10, v1, v13
	v_mov_b32_e32 v9, v4
	v_lshl_add_u64 v[8:9], v[8:9], 0, v[10:11]
	v_mul_hi_u32 v11, v5, v12
	v_mul_lo_u32 v12, v5, v12
	v_add_co_u32_e32 v8, vcc, v8, v12
	v_mul_hi_u32 v10, v5, v13
	s_nop 0
	v_addc_co_u32_e32 v8, vcc, v9, v11, vcc
	v_mov_b32_e32 v9, v4
	s_nop 0
	v_addc_co_u32_e32 v11, vcc, 0, v10, vcc
	v_mul_lo_u32 v10, v5, v13
	v_lshl_add_u64 v[8:9], v[8:9], 0, v[10:11]
	v_add_co_u32_e32 v1, vcc, v1, v8
	v_mul_lo_u32 v10, s2, v1
	s_nop 0
	v_addc_co_u32_e32 v5, vcc, v5, v9, vcc
	v_mul_lo_u32 v8, s2, v5
	v_mul_hi_u32 v9, s2, v1
	v_add_u32_e32 v8, v9, v8
	v_mul_lo_u32 v9, s3, v1
	v_add_u32_e32 v12, v8, v9
	v_mul_hi_u32 v14, v5, v10
	v_mul_lo_u32 v15, v5, v10
	v_mul_hi_u32 v9, v1, v12
	v_mul_lo_u32 v8, v1, v12
	v_mul_hi_u32 v10, v1, v10
	v_mov_b32_e32 v11, v4
	v_lshl_add_u64 v[8:9], v[10:11], 0, v[8:9]
	v_add_co_u32_e32 v8, vcc, v8, v15
	v_mul_hi_u32 v13, v5, v12
	s_nop 0
	v_addc_co_u32_e32 v8, vcc, v9, v14, vcc
	v_mul_lo_u32 v10, v5, v12
	s_nop 0
	v_addc_co_u32_e32 v11, vcc, 0, v13, vcc
	v_mov_b32_e32 v9, v4
	v_lshl_add_u64 v[8:9], v[8:9], 0, v[10:11]
	v_add_co_u32_e32 v1, vcc, v1, v8
	v_mul_hi_u32 v10, v6, v1
	s_nop 0
	v_addc_co_u32_e32 v5, vcc, v5, v9, vcc
	v_mad_u64_u32 v[8:9], s[2:3], v6, v5, 0
	v_mov_b32_e32 v11, v4
	v_lshl_add_u64 v[8:9], v[10:11], 0, v[8:9]
	v_mad_u64_u32 v[12:13], s[2:3], v7, v1, 0
	v_add_co_u32_e32 v1, vcc, v8, v12
	v_mad_u64_u32 v[10:11], s[2:3], v7, v5, 0
	s_nop 0
	v_addc_co_u32_e32 v8, vcc, v9, v13, vcc
	v_mov_b32_e32 v9, v4
	s_nop 0
	v_addc_co_u32_e32 v11, vcc, 0, v11, vcc
	v_lshl_add_u64 v[8:9], v[8:9], 0, v[10:11]
	v_mul_lo_u32 v1, s21, v8
	v_mul_lo_u32 v5, s20, v9
	v_mad_u64_u32 v[10:11], s[2:3], s20, v8, 0
	v_add3_u32 v1, v11, v5, v1
	v_sub_u32_e32 v5, v7, v1
	v_mov_b32_e32 v11, s21
	v_sub_co_u32_e32 v14, vcc, v6, v10
	v_lshl_add_u64 v[12:13], v[8:9], 0, 1
	s_nop 0
	v_subb_co_u32_e64 v5, s[2:3], v5, v11, vcc
	v_subrev_co_u32_e64 v10, s[2:3], s20, v14
	v_subb_co_u32_e32 v1, vcc, v7, v1, vcc
	s_nop 0
	v_subbrev_co_u32_e64 v5, s[2:3], 0, v5, s[2:3]
	v_cmp_le_u32_e64 s[2:3], s21, v5
	v_cmp_le_u32_e32 vcc, s21, v1
	s_nop 0
	v_cndmask_b32_e64 v11, 0, -1, s[2:3]
	v_cmp_le_u32_e64 s[2:3], s20, v10
	s_nop 1
	v_cndmask_b32_e64 v10, 0, -1, s[2:3]
	v_cmp_eq_u32_e64 s[2:3], s21, v5
	s_nop 1
	v_cndmask_b32_e64 v5, v11, v10, s[2:3]
	v_lshl_add_u64 v[10:11], v[8:9], 0, 2
	v_cmp_ne_u32_e64 s[2:3], 0, v5
	s_nop 1
	v_cndmask_b32_e64 v5, v13, v11, s[2:3]
	v_cndmask_b32_e64 v11, 0, -1, vcc
	v_cmp_le_u32_e32 vcc, s20, v14
	s_nop 1
	v_cndmask_b32_e64 v13, 0, -1, vcc
	v_cmp_eq_u32_e32 vcc, s21, v1
	s_nop 1
	v_cndmask_b32_e32 v1, v11, v13, vcc
	v_cmp_ne_u32_e32 vcc, 0, v1
	v_cndmask_b32_e64 v1, v12, v10, s[2:3]
	s_nop 0
	v_cndmask_b32_e32 v9, v9, v5, vcc
	v_cndmask_b32_e32 v8, v8, v1, vcc
.LBB0_4:                                ;   in Loop: Header=BB0_2 Depth=1
	s_andn2_saveexec_b64 s[2:3], s[22:23]
	s_cbranch_execz .LBB0_6
; %bb.5:                                ;   in Loop: Header=BB0_2 Depth=1
	v_cvt_f32_u32_e32 v1, s20
	s_sub_i32 s22, 0, s20
	v_rcp_iflag_f32_e32 v1, v1
	s_nop 0
	v_mul_f32_e32 v1, 0x4f7ffffe, v1
	v_cvt_u32_f32_e32 v1, v1
	v_mul_lo_u32 v5, s22, v1
	v_mul_hi_u32 v5, v1, v5
	v_add_u32_e32 v1, v1, v5
	v_mul_hi_u32 v1, v6, v1
	v_mul_lo_u32 v5, v1, s20
	v_sub_u32_e32 v5, v6, v5
	v_add_u32_e32 v8, 1, v1
	v_subrev_u32_e32 v9, s20, v5
	v_cmp_le_u32_e32 vcc, s20, v5
	s_nop 1
	v_cndmask_b32_e32 v5, v5, v9, vcc
	v_cndmask_b32_e32 v1, v1, v8, vcc
	v_add_u32_e32 v8, 1, v1
	v_cmp_le_u32_e32 vcc, s20, v5
	v_mov_b32_e32 v9, v4
	s_nop 0
	v_cndmask_b32_e32 v8, v1, v8, vcc
.LBB0_6:                                ;   in Loop: Header=BB0_2 Depth=1
	s_or_b64 exec, exec, s[2:3]
	v_mad_u64_u32 v[10:11], s[2:3], v8, s20, 0
	s_load_dwordx2 s[2:3], s[14:15], 0x0
	v_mul_lo_u32 v1, v9, s20
	v_mul_lo_u32 v5, v8, s21
	v_add3_u32 v1, v11, v5, v1
	v_sub_co_u32_e32 v5, vcc, v6, v10
	s_add_u32 s16, s16, 1
	s_nop 0
	v_subb_co_u32_e32 v1, vcc, v7, v1, vcc
	s_addc_u32 s17, s17, 0
	s_waitcnt lgkmcnt(0)
	v_mul_lo_u32 v1, s2, v1
	v_mul_lo_u32 v6, s3, v5
	v_mad_u64_u32 v[2:3], s[2:3], s2, v5, v[2:3]
	s_add_u32 s14, s14, 8
	v_add3_u32 v3, v6, v3, v1
	s_addc_u32 s15, s15, 0
	v_mov_b64_e32 v[6:7], s[6:7]
	s_add_u32 s18, s18, 8
	v_cmp_ge_u64_e32 vcc, s[16:17], v[6:7]
	s_addc_u32 s19, s19, 0
	s_cbranch_vccnz .LBB0_9
; %bb.7:                                ;   in Loop: Header=BB0_2 Depth=1
	v_mov_b64_e32 v[6:7], v[8:9]
	s_branch .LBB0_2
.LBB0_8:
	v_mov_b64_e32 v[8:9], v[6:7]
.LBB0_9:
	s_lshl_b64 s[2:3], s[6:7], 3
	s_add_u32 s2, s12, s2
	s_addc_u32 s3, s13, s3
	s_load_dwordx2 s[6:7], s[2:3], 0x0
	s_load_dwordx2 s[12:13], s[0:1], 0x20
                                        ; implicit-def: $vgpr22
                                        ; implicit-def: $vgpr21
                                        ; implicit-def: $vgpr50
                                        ; implicit-def: $vgpr52
                                        ; implicit-def: $vgpr28
                                        ; implicit-def: $vgpr10
                                        ; implicit-def: $vgpr18
                                        ; implicit-def: $vgpr16
                                        ; implicit-def: $vgpr24
                                        ; implicit-def: $vgpr14
                                        ; implicit-def: $vgpr26
                                        ; implicit-def: $vgpr12
                                        ; implicit-def: $vgpr48
                                        ; implicit-def: $vgpr32
                                        ; implicit-def: $vgpr42
                                        ; implicit-def: $vgpr44
                                        ; implicit-def: $vgpr57
                                        ; implicit-def: $vgpr54
                                        ; implicit-def: $vgpr46
                                        ; implicit-def: $vgpr34
                                        ; implicit-def: $vgpr40
                                        ; implicit-def: $vgpr36
                                        ; implicit-def: $vgpr38
                                        ; implicit-def: $vgpr30
	s_waitcnt lgkmcnt(0)
	v_mad_u64_u32 v[4:5], s[0:1], s6, v8, v[2:3]
	v_mul_lo_u32 v1, s6, v9
	v_mul_lo_u32 v6, s7, v8
	s_mov_b32 s0, 0x2302303
	v_add3_u32 v5, v6, v5, v1
	v_mul_hi_u32 v1, v0, s0
	v_mul_u32_u24_e32 v1, 0x75, v1
	v_cmp_gt_u64_e32 vcc, s[12:13], v[8:9]
	v_sub_u32_e32 v98, v0, v1
	v_mov_b32_e32 v3, 0
	v_lshl_add_u64 v[0:1], v[4:5], 3, s[10:11]
	v_mov_b32_e32 v2, 0
                                        ; implicit-def: $vgpr8
                                        ; implicit-def: $vgpr4
                                        ; implicit-def: $vgpr6
	s_and_saveexec_b64 s[2:3], vcc
	s_cbranch_execz .LBB0_13
; %bb.10:
	v_mad_u64_u32 v[2:3], s[0:1], s8, v98, 0
	v_mov_b32_e32 v4, v3
	v_mad_u64_u32 v[4:5], s[0:1], s9, v98, v[4:5]
	v_add_u32_e32 v7, 0x87, v98
	v_mov_b32_e32 v3, v4
	v_mad_u64_u32 v[4:5], s[0:1], s8, v7, 0
	v_mov_b32_e32 v6, v5
	v_mad_u64_u32 v[6:7], s[0:1], s9, v7, v[6:7]
	v_add_u32_e32 v9, 0x10e, v98
	v_mov_b32_e32 v5, v6
	v_mad_u64_u32 v[6:7], s[0:1], s8, v9, 0
	v_mov_b32_e32 v8, v7
	v_mad_u64_u32 v[8:9], s[0:1], s9, v9, v[8:9]
	v_mov_b32_e32 v7, v8
	v_add_u32_e32 v11, 0x195, v98
	v_lshl_add_u64 v[8:9], v[6:7], 3, v[0:1]
	v_mad_u64_u32 v[6:7], s[0:1], s8, v11, 0
	v_mov_b32_e32 v10, v7
	v_mad_u64_u32 v[10:11], s[0:1], s9, v11, v[10:11]
	v_lshl_add_u64 v[2:3], v[2:3], 3, v[0:1]
	v_lshl_add_u64 v[4:5], v[4:5], 3, v[0:1]
	v_mov_b32_e32 v7, v10
	v_lshl_add_u64 v[10:11], v[6:7], 3, v[0:1]
	global_load_dwordx2 v[6:7], v[2:3], off
	global_load_dwordx2 v[54:55], v[4:5], off
	;; [unrolled: 1-line block ×4, first 2 shown]
	v_add_u32_e32 v5, 0x21c, v98
	v_mad_u64_u32 v[2:3], s[0:1], s8, v5, 0
	v_mov_b32_e32 v4, v3
	v_mad_u64_u32 v[4:5], s[0:1], s9, v5, v[4:5]
	v_add_u32_e32 v9, 0x2a3, v98
	v_mov_b32_e32 v3, v4
	v_mad_u64_u32 v[4:5], s[0:1], s8, v9, 0
	v_mov_b32_e32 v8, v5
	v_mad_u64_u32 v[8:9], s[0:1], s9, v9, v[8:9]
	v_add_u32_e32 v11, 0x32a, v98
	v_mov_b32_e32 v5, v8
	;; [unrolled: 5-line block ×3, first 2 shown]
	v_mad_u64_u32 v[10:11], s[0:1], s8, v13, 0
	v_mov_b32_e32 v12, v11
	v_mad_u64_u32 v[12:13], s[0:1], s9, v13, v[12:13]
	v_lshl_add_u64 v[2:3], v[2:3], 3, v[0:1]
	v_lshl_add_u64 v[4:5], v[4:5], 3, v[0:1]
	v_mov_b32_e32 v11, v12
	v_lshl_add_u64 v[8:9], v[8:9], 3, v[0:1]
	v_lshl_add_u64 v[10:11], v[10:11], 3, v[0:1]
	global_load_dwordx2 v[48:49], v[2:3], off
	global_load_dwordx2 v[38:39], v[4:5], off
	;; [unrolled: 1-line block ×4, first 2 shown]
	v_add_u32_e32 v5, 0x438, v98
	v_mad_u64_u32 v[2:3], s[0:1], s8, v5, 0
	v_mov_b32_e32 v4, v3
	v_mad_u64_u32 v[4:5], s[0:1], s9, v5, v[4:5]
	v_add_u32_e32 v9, 0x4bf, v98
	v_mov_b32_e32 v3, v4
	v_mad_u64_u32 v[4:5], s[0:1], s8, v9, 0
	v_mov_b32_e32 v8, v5
	v_mad_u64_u32 v[8:9], s[0:1], s9, v9, v[8:9]
	v_add_u32_e32 v11, 0x546, v98
	v_mov_b32_e32 v5, v8
	;; [unrolled: 5-line block ×3, first 2 shown]
	v_mad_u64_u32 v[10:11], s[0:1], s8, v13, 0
	v_mov_b32_e32 v12, v11
	v_mad_u64_u32 v[12:13], s[0:1], s9, v13, v[12:13]
	v_lshl_add_u64 v[2:3], v[2:3], 3, v[0:1]
	v_lshl_add_u64 v[4:5], v[4:5], 3, v[0:1]
	v_mov_b32_e32 v11, v12
	v_lshl_add_u64 v[8:9], v[8:9], 3, v[0:1]
	v_lshl_add_u64 v[10:11], v[10:11], 3, v[0:1]
	global_load_dwordx2 v[46:47], v[2:3], off
	global_load_dwordx2 v[58:59], v[4:5], off
	;; [unrolled: 1-line block ×4, first 2 shown]
	v_add_u32_e32 v5, 0x654, v98
	v_mad_u64_u32 v[2:3], s[0:1], s8, v5, 0
	v_mov_b32_e32 v4, v3
	v_mad_u64_u32 v[4:5], s[0:1], s9, v5, v[4:5]
	v_mov_b32_e32 v3, v4
	v_lshl_add_u64 v[2:3], v[2:3], 3, v[0:1]
	global_load_dwordx2 v[32:33], v[2:3], off
	v_cmp_gt_u32_e64 s[0:1], 18, v98
	v_mov_b32_e32 v2, 0
	v_mov_b32_e32 v3, 0
                                        ; implicit-def: $vgpr5
                                        ; implicit-def: $vgpr13
                                        ; implicit-def: $vgpr27
                                        ; implicit-def: $vgpr15
                                        ; implicit-def: $vgpr25
                                        ; implicit-def: $vgpr17
                                        ; implicit-def: $vgpr19
                                        ; implicit-def: $vgpr11
                                        ; implicit-def: $vgpr9
                                        ; implicit-def: $vgpr20
                                        ; implicit-def: $vgpr28
                                        ; implicit-def: $vgpr52
                                        ; implicit-def: $vgpr23
	s_and_saveexec_b64 s[6:7], s[0:1]
	s_cbranch_execz .LBB0_12
; %bb.11:
	v_add_u32_e32 v5, 0x75, v98
	v_mad_u64_u32 v[2:3], s[0:1], s8, v5, 0
	v_mov_b32_e32 v4, v3
	v_mad_u64_u32 v[4:5], s[0:1], s9, v5, v[4:5]
	v_mov_b32_e32 v3, v4
	v_add_u32_e32 v5, 0xfc, v98
	v_lshl_add_u64 v[8:9], v[2:3], 3, v[0:1]
	v_mad_u64_u32 v[2:3], s[0:1], s8, v5, 0
	v_mov_b32_e32 v4, v3
	v_mad_u64_u32 v[4:5], s[0:1], s9, v5, v[4:5]
	v_mov_b32_e32 v3, v4
	v_lshl_add_u64 v[10:11], v[2:3], 3, v[0:1]
	global_load_dwordx2 v[2:3], v[8:9], off
	global_load_dwordx2 v[4:5], v[10:11], off
	v_add_u32_e32 v11, 0x183, v98
	v_mad_u64_u32 v[8:9], s[0:1], s8, v11, 0
	v_mov_b32_e32 v10, v9
	v_mad_u64_u32 v[10:11], s[0:1], s9, v11, v[10:11]
	v_mov_b32_e32 v9, v10
	v_add_u32_e32 v11, 0x20a, v98
	v_lshl_add_u64 v[12:13], v[8:9], 3, v[0:1]
	v_mad_u64_u32 v[8:9], s[0:1], s8, v11, 0
	v_mov_b32_e32 v10, v9
	v_mad_u64_u32 v[10:11], s[0:1], s9, v11, v[10:11]
	v_mov_b32_e32 v9, v10
	v_add_u32_e32 v11, 0x291, v98
	v_lshl_add_u64 v[14:15], v[8:9], 3, v[0:1]
	v_mad_u64_u32 v[8:9], s[0:1], s8, v11, 0
	v_mov_b32_e32 v10, v9
	v_mad_u64_u32 v[10:11], s[0:1], s9, v11, v[10:11]
	v_mov_b32_e32 v9, v10
	v_lshl_add_u64 v[8:9], v[8:9], 3, v[0:1]
	v_add_u32_e32 v11, 0x318, v98
	global_load_dwordx2 v[52:53], v[8:9], off
	v_mad_u64_u32 v[8:9], s[0:1], s8, v11, 0
	v_mov_b32_e32 v10, v9
	v_mad_u64_u32 v[10:11], s[0:1], s9, v11, v[10:11]
	v_mov_b32_e32 v9, v10
	v_add_u32_e32 v11, 0x39f, v98
	v_lshl_add_u64 v[16:17], v[8:9], 3, v[0:1]
	v_mad_u64_u32 v[8:9], s[0:1], s8, v11, 0
	v_mov_b32_e32 v10, v9
	v_mad_u64_u32 v[10:11], s[0:1], s9, v11, v[10:11]
	v_mov_b32_e32 v9, v10
	v_add_u32_e32 v11, 0x426, v98
	v_lshl_add_u64 v[18:19], v[8:9], 3, v[0:1]
	v_mad_u64_u32 v[8:9], s[0:1], s8, v11, 0
	v_mov_b32_e32 v10, v9
	v_mad_u64_u32 v[10:11], s[0:1], s9, v11, v[10:11]
	v_mov_b32_e32 v9, v10
	v_lshl_add_u64 v[8:9], v[8:9], 3, v[0:1]
	v_add_u32_e32 v11, 0x4ad, v98
	global_load_dwordx2 v[20:21], v[8:9], off
	v_mad_u64_u32 v[8:9], s[0:1], s8, v11, 0
	v_mov_b32_e32 v10, v9
	v_mad_u64_u32 v[10:11], s[0:1], s9, v11, v[10:11]
	v_mov_b32_e32 v9, v10
	v_lshl_add_u64 v[22:23], v[8:9], 3, v[0:1]
	global_load_dwordx2 v[8:9], v[18:19], off
	global_load_dwordx2 v[10:11], v[16:17], off
	v_add_u32_e32 v19, 0x534, v98
	v_mad_u64_u32 v[16:17], s[0:1], s8, v19, 0
	v_mov_b32_e32 v18, v17
	v_mad_u64_u32 v[18:19], s[0:1], s9, v19, v[18:19]
	v_mov_b32_e32 v17, v18
	v_add_u32_e32 v19, 0x5bb, v98
	v_lshl_add_u64 v[50:51], v[16:17], 3, v[0:1]
	v_mad_u64_u32 v[16:17], s[0:1], s8, v19, 0
	v_mov_b32_e32 v18, v17
	v_mad_u64_u32 v[18:19], s[0:1], s9, v19, v[18:19]
	global_load_dwordx2 v[24:25], v[14:15], off
	global_load_dwordx2 v[26:27], v[12:13], off
	v_add_u32_e32 v15, 0x6c9, v98
	v_mov_b32_e32 v17, v18
	v_add_u32_e32 v19, 0x642, v98
	v_mad_u64_u32 v[12:13], s[0:1], s8, v15, 0
	v_lshl_add_u64 v[56:57], v[16:17], 3, v[0:1]
	v_mad_u64_u32 v[16:17], s[0:1], s8, v19, 0
	v_mov_b32_e32 v14, v13
	v_mov_b32_e32 v18, v17
	v_mad_u64_u32 v[14:15], s[0:1], s9, v15, v[14:15]
	v_mad_u64_u32 v[18:19], s[0:1], s9, v19, v[18:19]
	v_mov_b32_e32 v13, v14
	v_mov_b32_e32 v17, v18
	v_lshl_add_u64 v[62:63], v[12:13], 3, v[0:1]
	v_lshl_add_u64 v[60:61], v[16:17], 3, v[0:1]
	global_load_dwordx2 v[28:29], v[62:63], off
	global_load_dwordx2 v[18:19], v[22:23], off
	;; [unrolled: 1-line block ×5, first 2 shown]
	s_waitcnt vmcnt(10)
	v_mov_b32_e32 v22, v53
	s_waitcnt vmcnt(4)
	v_mov_b32_e32 v23, v29
.LBB0_12:
	s_or_b64 exec, exec, s[6:7]
	s_waitcnt vmcnt(8)
	v_mov_b32_e32 v50, v49
	v_mov_b32_e32 v51, v55
	;; [unrolled: 1-line block ×3, first 2 shown]
	s_waitcnt vmcnt(3)
	v_mov_b32_e32 v57, v58
	v_mov_b32_e32 v54, v59
.LBB0_13:
	s_or_b64 exec, exec, s[2:3]
	v_add_f32_e32 v29, v6, v49
	v_add_f32_e32 v29, v29, v40
	s_mov_b32 s10, 0xbf29c268
	s_mov_b32 s14, 0xbf6f5d39
	s_waitcnt vmcnt(0)
	v_pk_add_f32 v[58:59], v[50:51], v[32:33] neg_lo:[0,1] neg_hi:[0,1]
	s_mov_b32 s2, 0x3f29c268
	v_add_f32_e32 v60, v29, v36
	s_mov_b32 s12, 0xbf7e222b
	s_mov_b32 s11, 0xbf3f9e67
	;; [unrolled: 1-line block ×4, first 2 shown]
	v_mov_b32_e32 v61, v32
	s_mov_b32 s18, s14
	s_mov_b32 s19, s10
	;; [unrolled: 1-line block ×4, first 2 shown]
	v_pk_add_f32 v[60:61], v[60:61], v[48:49]
	v_pk_mul_f32 v[62:63], v[58:59], s[18:19] op_sel:[1,0]
	s_mov_b32 s20, s2
	s_mov_b32 s21, s6
	;; [unrolled: 1-line block ×4, first 2 shown]
	v_pk_add_f32 v[82:83], v[40:41], v[42:43] neg_lo:[0,1] neg_hi:[0,1]
	s_mov_b32 s16, s11
	s_mov_b32 s17, s13
	v_pk_fma_f32 v[64:65], v[60:61], s[22:23], v[62:63] op_sel:[1,0,0] neg_lo:[0,0,1] neg_hi:[0,0,1]
	v_pk_add_f32 v[78:79], v[42:43], v[40:41]
	v_pk_mul_f32 v[66:67], v[82:83], s[20:21] op_sel:[1,0]
	s_mov_b32 s64, 0xbf52af12
	v_pk_add_f32 v[64:65], v[64:65], v[6:7] op_sel_hi:[1,0]
	v_pk_fma_f32 v[68:69], v[78:79], s[16:17], v[66:67] op_sel_hi:[0,1,1] neg_lo:[0,0,1] neg_hi:[0,0,1]
	s_mov_b32 s65, 0x3f116cb1
	s_mov_b32 s37, 0x3f62ad3f
	;; [unrolled: 1-line block ×4, first 2 shown]
	v_pk_add_f32 v[88:89], v[36:37], v[44:45] neg_lo:[0,1] neg_hi:[0,1]
	v_pk_add_f32 v[64:65], v[64:65], v[68:69]
	s_mov_b32 s24, s37
	s_mov_b32 s25, s65
	v_pk_add_f32 v[80:81], v[44:45], v[36:37]
	v_pk_mul_f32 v[68:69], v[88:89], s[30:31] op_sel:[1,0]
	s_mov_b32 s44, 0xbe750f2a
	v_pk_fma_f32 v[70:71], v[80:81], s[24:25], v[68:69] op_sel_hi:[0,1,1] neg_lo:[0,0,1] neg_hi:[0,0,1]
	v_mov_b32_e32 v56, v50
	v_mov_b32_e32 v55, v48
	v_pk_add_f32 v[64:65], v[64:65], v[70:71]
	s_mov_b32 s45, 0xbf788fa5
	s_mov_b32 s39, 0x3e750f2a
	;; [unrolled: 1-line block ×3, first 2 shown]
	v_pk_add_f32 v[70:71], v[56:57], v[54:55] neg_lo:[0,1] neg_hi:[0,1]
	s_mov_b32 s26, s13
	s_mov_b32 s27, s45
	v_pk_add_f32 v[84:85], v[56:57], v[54:55]
	v_pk_mul_f32 v[72:73], v[70:71], s[38:39] op_sel_hi:[0,1]
	v_pk_fma_f32 v[74:75], v[84:85], s[26:27], v[72:73] op_sel:[1,0,0] neg_lo:[0,0,1] neg_hi:[0,0,1]
	s_mov_b32 s40, s39
	s_mov_b32 s41, s3
	v_pk_add_f32 v[94:95], v[38:39], v[46:47] neg_lo:[0,1] neg_hi:[0,1]
	v_pk_add_f32 v[64:65], v[64:65], v[74:75]
	s_mov_b32 s28, s45
	s_mov_b32 s29, s37
	v_pk_add_f32 v[86:87], v[46:47], v[38:39]
	v_pk_mul_f32 v[74:75], v[94:95], s[40:41] op_sel:[1,0]
	s_mov_b32 s42, 0x3f52af12
	v_pk_fma_f32 v[76:77], v[86:87], s[28:29], v[74:75] op_sel_hi:[0,1,1] neg_lo:[0,0,1] neg_hi:[0,0,1]
	s_mov_b32 s43, s14
	v_pk_add_f32 v[90:91], v[30:31], v[34:35] neg_lo:[0,1] neg_hi:[0,1]
	v_pk_add_f32 v[64:65], v[64:65], v[76:77]
	s_mov_b32 s34, s65
	s_mov_b32 s35, s15
	v_pk_add_f32 v[92:93], v[34:35], v[30:31]
	v_pk_mul_f32 v[76:77], v[90:91], s[42:43] op_sel:[1,0]
	v_mad_u32_u24 v48, v98, 52, 0
	v_pk_fma_f32 v[96:97], v[92:93], s[34:35], v[76:77] op_sel_hi:[0,1,1] neg_lo:[0,0,1] neg_hi:[0,0,1]
	v_pk_add_f32 v[64:65], v[64:65], v[96:97]
	s_mov_b32 s50, s64
	s_mov_b32 s51, s12
	ds_write2_b32 v48, v65, v64 offset0:8 offset1:9
	s_mov_b32 s54, s14
	s_mov_b32 s55, s44
	;; [unrolled: 1-line block ×4, first 2 shown]
	v_pk_mul_f32 v[64:65], v[58:59], s[50:51] op_sel:[1,0]
	s_mov_b32 s46, s15
	s_mov_b32 s47, s45
	v_pk_fma_f32 v[96:97], v[60:61], s[48:49], v[64:65] op_sel:[1,0,0] neg_lo:[0,0,1] neg_hi:[0,0,1]
	v_pk_mul_f32 v[100:101], v[82:83], s[54:55] op_sel:[1,0]
	v_pk_add_f32 v[96:97], v[96:97], v[6:7] op_sel_hi:[1,0]
	v_pk_fma_f32 v[102:103], v[78:79], s[46:47], v[100:101] op_sel_hi:[0,1,1] neg_lo:[0,0,1] neg_hi:[0,0,1]
	s_mov_b32 s61, 0x3f6f5d39
	s_mov_b32 s60, s44
	v_pk_add_f32 v[96:97], v[96:97], v[102:103]
	s_mov_b32 s52, s45
	s_mov_b32 s53, s15
	v_pk_mul_f32 v[102:103], v[88:89], s[60:61] op_sel:[1,0]
	s_mov_b32 s36, s11
	v_pk_fma_f32 v[104:105], v[80:81], s[52:53], v[102:103] op_sel_hi:[0,1,1] neg_lo:[0,0,1] neg_hi:[0,0,1]
	v_pk_add_f32 v[96:97], v[96:97], v[104:105]
	v_pk_mul_f32 v[104:105], v[70:71], s[2:3] op_sel_hi:[0,1]
	v_pk_fma_f32 v[106:107], v[84:85], s[36:37], v[104:105] op_sel:[1,0,0] neg_lo:[0,0,1] neg_hi:[0,0,1]
	s_mov_b32 s7, s64
	v_pk_add_f32 v[96:97], v[96:97], v[106:107]
	s_mov_b32 s56, s13
	s_mov_b32 s57, s65
	v_pk_mul_f32 v[106:107], v[94:95], s[6:7] op_sel:[1,0]
	s_mov_b32 s62, s3
	v_pk_fma_f32 v[108:109], v[86:87], s[56:57], v[106:107] op_sel_hi:[0,1,1] neg_lo:[0,0,1] neg_hi:[0,0,1]
	s_mov_b32 s63, s10
	v_pk_add_f32 v[96:97], v[96:97], v[108:109]
	s_mov_b32 s58, s37
	s_mov_b32 s59, s11
	v_pk_mul_f32 v[108:109], v[90:91], s[62:63] op_sel:[1,0]
	v_pk_fma_f32 v[64:65], v[60:61], s[48:49], v[64:65] op_sel:[1,0,0]
	v_pk_fma_f32 v[110:111], v[92:93], s[58:59], v[108:109] op_sel_hi:[0,1,1] neg_lo:[0,0,1] neg_hi:[0,0,1]
	v_pk_add_f32 v[96:97], v[96:97], v[110:111]
	ds_write2_b32 v48, v97, v96 offset0:10 offset1:11
	v_mov_b32_e32 v96, v83
	v_mov_b32_e32 v97, v78
	v_pk_mul_f32 v[110:111], v[96:97], s[64:65]
	v_pk_fma_f32 v[100:101], v[78:79], s[46:47], v[100:101] op_sel_hi:[0,1,1]
	v_mov_b32_e32 v29, v110
	v_pk_fma_f32 v[112:113], v[96:97], s[64:65], v[28:29]
	v_mov_b32_e32 v96, v89
	v_mov_b32_e32 v97, v80
	v_pk_mul_f32 v[114:115], v[96:97], s[12:13]
	v_pk_add_f32 v[64:65], v[64:65], v[6:7] op_sel_hi:[1,0]
	v_mov_b32_e32 v29, v114
	v_pk_fma_f32 v[116:117], v[96:97], s[12:13], v[28:29]
	v_mov_b32_e32 v96, v70
	v_mov_b32_e32 v97, v85
	v_pk_mul_f32 v[118:119], v[96:97], s[14:15]
	v_pk_add_f32 v[64:65], v[64:65], v[100:101]
	v_mov_b32_e32 v29, v118
	v_pk_fma_f32 v[100:101], v[80:81], s[52:53], v[102:103] op_sel_hi:[0,1,1]
	v_pk_fma_f32 v[120:121], v[96:97], s[14:15], v[28:29]
	v_mov_b32_e32 v96, v95
	v_mov_b32_e32 v97, v86
	v_pk_add_f32 v[64:65], v[64:65], v[100:101]
	v_pk_fma_f32 v[100:101], v[84:85], s[36:37], v[104:105] op_sel:[1,0,0]
	v_pk_mul_f32 v[122:123], v[96:97], s[10:11]
	v_pk_add_f32 v[64:65], v[64:65], v[100:101]
	v_pk_fma_f32 v[100:101], v[86:87], s[56:57], v[106:107] op_sel_hi:[0,1,1]
	v_mov_b32_e32 v29, v122
	v_pk_add_f32 v[64:65], v[64:65], v[100:101]
	v_pk_fma_f32 v[100:101], v[92:93], s[58:59], v[108:109] op_sel_hi:[0,1,1]
	v_pk_fma_f32 v[124:125], v[96:97], s[10:11], v[28:29]
	v_mov_b32_e32 v96, v91
	v_mov_b32_e32 v97, v92
	v_pk_add_f32 v[64:65], v[64:65], v[100:101]
	v_pk_fma_f32 v[62:63], v[60:61], s[22:23], v[62:63] op_sel:[1,0,0]
	v_pk_mul_f32 v[126:127], v[96:97], s[44:45]
	ds_write2_b32 v48, v64, v65 offset0:2 offset1:3
	v_pk_fma_f32 v[64:65], v[78:79], s[16:17], v[66:67] op_sel_hi:[0,1,1]
	v_pk_add_f32 v[62:63], v[62:63], v[6:7] op_sel_hi:[1,0]
	v_mov_b32_e32 v29, v126
	v_pk_add_f32 v[62:63], v[62:63], v[64:65]
	v_pk_fma_f32 v[64:65], v[80:81], s[24:25], v[68:69] op_sel_hi:[0,1,1]
	v_pk_fma_f32 v[128:129], v[96:97], s[44:45], v[28:29]
	v_mov_b32_e32 v97, 0x3f62ad3f
	v_mov_b32_e32 v96, v38
	v_pk_add_f32 v[62:63], v[62:63], v[64:65]
	v_pk_fma_f32 v[64:65], v[84:85], s[26:27], v[72:73] op_sel:[1,0,0]
	v_pk_add_f32 v[130:131], v[60:61], v[38:39]
	v_pk_mul_f32 v[132:133], v[60:61], v[96:97]
	v_pk_add_f32 v[62:63], v[62:63], v[64:65]
	v_pk_fma_f32 v[64:65], v[86:87], s[28:29], v[74:75] op_sel_hi:[0,1,1]
	v_mov_b32_e32 v131, v133
	v_mul_f32_e32 v135, 0xbeedf032, v59
	v_mov_b32_e32 v134, v30
	v_pk_add_f32 v[62:63], v[62:63], v[64:65]
	v_pk_fma_f32 v[64:65], v[92:93], s[34:35], v[76:77] op_sel_hi:[0,1,1]
	v_pk_add_f32 v[130:131], v[130:131], v[134:135]
	v_mov_b32_e32 v134, v34
	v_pk_add_f32 v[62:63], v[62:63], v[64:65]
	v_mul_f32_e32 v30, 0x3f62ad3f, v78
	v_mul_f32_e32 v34, 0x3eedf032, v83
	ds_write2_b32 v48, v62, v63 offset0:4 offset1:5
	v_pk_add_f32 v[62:63], v[30:31], v[34:35]
	v_pk_add_f32 v[64:65], v[30:31], v[34:35] neg_lo:[0,1] neg_hi:[0,1]
	v_mul_f32_e32 v30, 0xbf3f9e67, v80
	v_mul_f32_e32 v34, 0xbf29c268, v89
	v_mov_b32_e32 v63, v64
	v_pk_add_f32 v[64:65], v[30:31], v[34:35]
	v_pk_add_f32 v[66:67], v[30:31], v[34:35] neg_lo:[0,1] neg_hi:[0,1]
	v_mul_f32_e32 v30, 0x3f52af12, v70
	v_mul_f32_e32 v34, 0x3f116cb1, v85
	v_mov_b32_e32 v65, v66
	;; [unrolled: 5-line block ×4, first 2 shown]
	v_pk_add_f32 v[70:71], v[30:31], v[34:35]
	v_pk_add_f32 v[72:73], v[30:31], v[34:35] neg_lo:[0,1] neg_hi:[0,1]
	v_mul_f32_e32 v30, 0xbe750f2a, v59
	v_mul_f32_e32 v34, 0xbf788fa5, v61
	v_fmac_f32_e32 v133, 0x3eedf032, v59
	v_pk_add_f32 v[58:59], v[34:35], v[30:31]
	v_pk_add_f32 v[60:61], v[34:35], v[30:31] neg_lo:[0,1] neg_hi:[0,1]
	v_mov_b32_e32 v135, v6
	v_mov_b32_e32 v59, v60
	v_pk_add_f32 v[58:59], v[58:59], v[6:7] op_sel_hi:[1,0]
	v_sub_f32_e32 v29, v111, v110
	v_add_f32_e32 v40, v133, v6
	v_pk_add_f32 v[130:131], v[130:131], v[134:135]
	v_mov_b32_e32 v112, v46
	v_pk_add_f32 v[58:59], v[58:59], v[62:63]
	v_sub_f32_e32 v30, v115, v114
	v_add_f32_e32 v29, v40, v29
	v_pk_add_f32 v[112:113], v[112:113], v[130:131]
	v_mov_b32_e32 v116, v57
	v_pk_add_f32 v[58:59], v[58:59], v[64:65]
	v_sub_f32_e32 v34, v119, v118
	v_add_f32_e32 v29, v29, v30
	v_pk_add_f32 v[112:113], v[116:117], v[112:113]
	v_mov_b32_e32 v120, v44
	v_pk_add_f32 v[58:59], v[58:59], v[66:67]
	v_sub_f32_e32 v36, v123, v122
	v_add_f32_e32 v29, v29, v34
	v_pk_add_f32 v[112:113], v[120:121], v[112:113]
	v_mov_b32_e32 v124, v42
	v_mov_b32_e32 v71, v72
	v_pk_add_f32 v[58:59], v[58:59], v[68:69]
	v_sub_f32_e32 v38, v127, v126
	v_add_f32_e32 v29, v29, v36
	v_pk_add_f32 v[112:113], v[124:125], v[112:113]
	v_mov_b32_e32 v128, v32
	v_pk_add_f32 v[58:59], v[58:59], v[70:71]
	v_add_f32_e32 v29, v29, v38
	v_mov_b32_e32 v53, v22
	v_pk_add_f32 v[112:113], v[128:129], v[112:113]
	ds_write2_b32 v48, v58, v59 offset0:6 offset1:7
	ds_write_b32 v48, v29 offset:48
	v_mov_b32_e32 v29, v28
	v_cmp_gt_u32_e64 s[0:1], 18, v98
	v_pk_add_f32 v[64:65], v[26:27], v[12:13]
	v_pk_add_f32 v[76:77], v[26:27], v[12:13] neg_lo:[0,1] neg_hi:[0,1]
	v_pk_add_f32 v[66:67], v[24:25], v[14:15]
	v_pk_add_f32 v[74:75], v[24:25], v[14:15] neg_lo:[0,1] neg_hi:[0,1]
	;; [unrolled: 2-line block ×5, first 2 shown]
	ds_write2_b32 v48, v112, v113 offset1:1
	s_and_saveexec_b64 s[66:67], s[0:1]
	s_cbranch_execz .LBB0_15
; %bb.14:
	v_mov_b32_e32 v104, v77
	v_mov_b32_e32 v105, v64
	;; [unrolled: 1-line block ×4, first 2 shown]
	v_pk_mul_f32 v[112:113], v[104:105], s[64:65]
	v_pk_mul_f32 v[114:115], v[106:107], s[12:13]
	v_mov_b32_e32 v116, v73
	v_mov_b32_e32 v117, v68
	;; [unrolled: 1-line block ×3, first 2 shown]
	v_pk_mul_f32 v[118:119], v[116:117], s[14:15]
	v_pk_fma_f32 v[104:105], v[104:105], s[64:65], v[98:99]
	v_mov_b32_e32 v99, v114
	v_pk_fma_f32 v[106:107], v[106:107], s[12:13], v[98:99]
	v_mov_b32_e32 v99, v118
	v_mov_b32_e32 v96, v2
	v_sub_f32_e32 v110, v113, v112
	v_pk_fma_f32 v[112:113], v[116:117], s[14:15], v[98:99]
	v_pk_add_f32 v[116:117], v[96:97], v[4:5]
	v_mov_b32_e32 v53, v28
	v_pk_add_f32 v[116:117], v[116:117], v[26:27]
	v_mov_b32_e32 v108, v71
	;; [unrolled: 2-line block ×3, first 2 shown]
	v_mov_b32_e32 v117, v4
	v_pk_mul_f32 v[120:121], v[108:109], s[10:11]
	v_pk_add_f32 v[52:53], v[116:117], v[52:53]
	v_mov_b32_e32 v96, v10
	v_pk_add_f32 v[102:103], v[4:5], v[22:23] neg_lo:[0,1] neg_hi:[0,1]
	v_sub_f32_e32 v127, v119, v118
	v_sub_f32_e32 v130, v121, v120
	v_mov_b32_e32 v99, v120
	v_pk_add_f32 v[118:119], v[52:53], v[10:11]
	v_pk_mul_f32 v[120:121], v[52:53], v[96:97]
	v_mov_b32_e32 v101, v2
	v_mov_b32_e32 v119, v121
	v_fmac_f32_e32 v121, 0x3eedf032, v103
	v_add_f32_e32 v2, v2, v121
	v_mul_f32_e32 v111, 0xbeedf032, v103
	v_add_f32_e32 v2, v2, v110
	v_mov_b32_e32 v110, v8
	v_mov_b32_e32 v100, v20
	v_pk_add_f32 v[110:111], v[118:119], v[110:111]
	v_mov_b32_e32 v122, v61
	v_mov_b32_e32 v123, v58
	v_pk_add_f32 v[110:111], v[110:111], v[100:101]
	v_mov_b32_e32 v104, v18
	v_pk_mul_f32 v[128:129], v[122:123], s[44:45]
	v_pk_add_f32 v[104:105], v[104:105], v[110:111]
	v_mov_b32_e32 v106, v16
	v_pk_fma_f32 v[108:109], v[108:109], s[10:11], v[98:99]
	v_mov_b32_e32 v99, v128
	v_pk_add_f32 v[104:105], v[106:107], v[104:105]
	v_mov_b32_e32 v112, v14
	v_sub_f32_e32 v125, v115, v114
	v_pk_fma_f32 v[114:115], v[122:123], s[44:45], v[98:99]
	v_pk_add_f32 v[104:105], v[112:113], v[104:105]
	v_mov_b32_e32 v108, v12
	v_pk_add_f32 v[104:105], v[108:109], v[104:105]
	v_mov_b32_e32 v114, v28
	v_add_u32_e32 v99, 0x17c4, v48
	v_pk_add_f32 v[104:105], v[114:115], v[104:105]
	v_pk_mul_f32 v[114:115], v[102:103], s[50:51] op_sel:[1,0]
	ds_write2_b32 v99, v104, v105 offset1:1
	v_pk_mul_f32 v[104:105], v[76:77], s[54:55] op_sel:[1,0]
	v_pk_fma_f32 v[132:133], v[52:53], s[48:49], v[114:115] op_sel:[1,0,0]
	v_add_f32_e32 v2, v2, v125
	v_pk_mul_f32 v[106:107], v[74:75], s[60:61] op_sel:[1,0]
	v_pk_fma_f32 v[118:119], v[64:65], s[46:47], v[104:105] op_sel_hi:[0,1,1]
	v_pk_add_f32 v[132:133], v[100:101], v[132:133] op_sel:[1,0]
	v_add_f32_e32 v2, v2, v127
	v_pk_mul_f32 v[108:109], v[72:73], s[2:3] op_sel:[1,0]
	v_pk_fma_f32 v[120:121], v[66:67], s[52:53], v[106:107] op_sel_hi:[0,1,1]
	v_pk_add_f32 v[118:119], v[132:133], v[118:119]
	v_sub_f32_e32 v129, v129, v128
	v_add_f32_e32 v2, v2, v130
	v_pk_mul_f32 v[110:111], v[70:71], s[6:7] op_sel:[1,0]
	v_pk_fma_f32 v[122:123], v[68:69], s[36:37], v[108:109] op_sel_hi:[0,1,1]
	v_pk_add_f32 v[118:119], v[118:119], v[120:121]
	v_add_f32_e32 v10, v2, v129
	v_pk_mul_f32 v[112:113], v[60:61], s[62:63] op_sel:[1,0]
	v_pk_fma_f32 v[128:129], v[62:63], s[56:57], v[110:111] op_sel_hi:[0,1,1]
	v_pk_add_f32 v[118:119], v[118:119], v[122:123]
	v_pk_fma_f32 v[130:131], v[58:59], s[58:59], v[112:113] op_sel_hi:[0,1,1]
	v_pk_add_f32 v[118:119], v[118:119], v[128:129]
	v_mul_f32_e32 v20, 0xbe750f2a, v103
	v_add_u32_e32 v2, 0x17cc, v48
	v_pk_add_f32 v[118:119], v[118:119], v[130:131]
	v_pk_mul_f32 v[102:103], v[102:103], s[18:19] op_sel:[1,0]
	ds_write2_b32 v2, v118, v119 offset1:1
	v_pk_mul_f32 v[118:119], v[76:77], s[20:21] op_sel:[1,0]
	v_pk_fma_f32 v[142:143], v[52:53], s[22:23], v[102:103] op_sel:[1,0,0]
	v_pk_mul_f32 v[120:121], v[74:75], s[30:31] op_sel:[1,0]
	v_pk_fma_f32 v[132:133], v[64:65], s[16:17], v[118:119] op_sel_hi:[0,1,1]
	v_pk_add_f32 v[142:143], v[100:101], v[142:143] op_sel:[1,0]
	v_pk_mul_f32 v[122:123], v[72:73], s[38:39] op_sel:[1,0]
	v_pk_fma_f32 v[134:135], v[66:67], s[24:25], v[120:121] op_sel_hi:[0,1,1]
	v_pk_add_f32 v[132:133], v[142:143], v[132:133]
	v_pk_mul_f32 v[128:129], v[70:71], s[40:41] op_sel:[1,0]
	v_pk_fma_f32 v[136:137], v[68:69], s[26:27], v[122:123] op_sel_hi:[0,1,1]
	v_pk_add_f32 v[132:133], v[132:133], v[134:135]
	;; [unrolled: 3-line block ×3, first 2 shown]
	v_pk_fma_f32 v[140:141], v[58:59], s[34:35], v[130:131] op_sel_hi:[0,1,1]
	v_pk_add_f32 v[132:133], v[132:133], v[138:139]
	v_mul_f32_e32 v30, 0x3f62ad3f, v64
	v_mul_f32_e32 v34, 0x3eedf032, v77
	v_add_u32_e32 v2, 0x17d4, v48
	v_pk_add_f32 v[132:133], v[132:133], v[140:141]
	v_mul_f32_e32 v36, 0xbf3f9e67, v66
	v_mul_f32_e32 v38, 0xbf29c268, v75
	ds_write2_b32 v2, v132, v133 offset1:1
	v_pk_add_f32 v[132:133], v[30:31], v[34:35]
	v_pk_add_f32 v[134:135], v[30:31], v[34:35] neg_lo:[0,1] neg_hi:[0,1]
	v_mul_f32_e32 v44, 0x3f116cb1, v68
	v_mul_f32_e32 v46, 0x3f52af12, v73
	v_mov_b32_e32 v133, v134
	v_pk_add_f32 v[134:135], v[36:37], v[38:39]
	v_pk_add_f32 v[136:137], v[36:37], v[38:39] neg_lo:[0,1] neg_hi:[0,1]
	v_mul_f32_e32 v40, 0xbeb58ec6, v62
	v_mul_f32_e32 v42, 0xbf6f5d39, v71
	v_mov_b32_e32 v135, v136
	;; [unrolled: 5-line block ×3, first 2 shown]
	v_pk_add_f32 v[138:139], v[40:41], v[42:43]
	v_pk_add_f32 v[140:141], v[40:41], v[42:43] neg_lo:[0,1] neg_hi:[0,1]
	v_mul_f32_e32 v116, 0xbf788fa5, v53
	v_mov_b32_e32 v139, v140
	v_pk_add_f32 v[140:141], v[124:125], v[126:127]
	v_pk_add_f32 v[124:125], v[124:125], v[126:127] neg_lo:[0,1] neg_hi:[0,1]
	v_add_u32_e32 v2, 0x17dc, v48
	v_mov_b32_e32 v141, v124
	v_pk_add_f32 v[124:125], v[116:117], v[20:21]
	v_pk_add_f32 v[116:117], v[116:117], v[20:21] neg_lo:[0,1] neg_hi:[0,1]
	v_pk_fma_f32 v[102:103], v[52:53], s[22:23], v[102:103] op_sel:[1,0,0] neg_lo:[0,0,1] neg_hi:[0,0,1]
	v_mov_b32_e32 v125, v116
	v_pk_add_f32 v[116:117], v[100:101], v[124:125] op_sel:[1,0]
	v_pk_add_f32 v[102:103], v[100:101], v[102:103] op_sel:[1,0]
	v_pk_add_f32 v[116:117], v[116:117], v[132:133]
	v_pk_fma_f32 v[124:125], v[58:59], s[34:35], v[130:131] op_sel_hi:[0,1,1] neg_lo:[0,0,1] neg_hi:[0,0,1]
	v_pk_add_f32 v[116:117], v[116:117], v[134:135]
	v_add_u32_e32 v8, 0x17e4, v48
	v_pk_add_f32 v[116:117], v[116:117], v[136:137]
	v_pk_fma_f32 v[52:53], v[52:53], s[48:49], v[114:115] op_sel:[1,0,0] neg_lo:[0,0,1] neg_hi:[0,0,1]
	v_pk_add_f32 v[116:117], v[116:117], v[138:139]
	v_pk_add_f32 v[52:53], v[100:101], v[52:53] op_sel:[1,0]
	v_pk_add_f32 v[116:117], v[116:117], v[140:141]
	ds_write2_b32 v2, v116, v117 offset1:1
	v_pk_fma_f32 v[116:117], v[64:65], s[16:17], v[118:119] op_sel_hi:[0,1,1] neg_lo:[0,0,1] neg_hi:[0,0,1]
	v_pk_fma_f32 v[118:119], v[66:67], s[24:25], v[120:121] op_sel_hi:[0,1,1] neg_lo:[0,0,1] neg_hi:[0,0,1]
	v_pk_add_f32 v[102:103], v[102:103], v[116:117]
	v_pk_fma_f32 v[120:121], v[68:69], s[26:27], v[122:123] op_sel_hi:[0,1,1] neg_lo:[0,0,1] neg_hi:[0,0,1]
	v_pk_add_f32 v[102:103], v[102:103], v[118:119]
	;; [unrolled: 2-line block ×3, first 2 shown]
	s_nop 0
	v_pk_add_f32 v[102:103], v[102:103], v[122:123]
	s_nop 0
	v_pk_add_f32 v[102:103], v[102:103], v[124:125]
	ds_write2_b32 v8, v103, v102 offset1:1
	v_pk_fma_f32 v[102:103], v[64:65], s[46:47], v[104:105] op_sel_hi:[0,1,1] neg_lo:[0,0,1] neg_hi:[0,0,1]
	v_pk_fma_f32 v[104:105], v[66:67], s[52:53], v[106:107] op_sel_hi:[0,1,1] neg_lo:[0,0,1] neg_hi:[0,0,1]
	v_pk_add_f32 v[52:53], v[52:53], v[102:103]
	v_pk_fma_f32 v[106:107], v[68:69], s[36:37], v[108:109] op_sel_hi:[0,1,1] neg_lo:[0,0,1] neg_hi:[0,0,1]
	v_pk_add_f32 v[52:53], v[52:53], v[104:105]
	v_pk_fma_f32 v[108:109], v[62:63], s[56:57], v[110:111] op_sel_hi:[0,1,1] neg_lo:[0,0,1] neg_hi:[0,0,1]
	v_pk_add_f32 v[52:53], v[52:53], v[106:107]
	v_pk_fma_f32 v[110:111], v[58:59], s[58:59], v[112:113] op_sel_hi:[0,1,1] neg_lo:[0,0,1] neg_hi:[0,0,1]
	v_pk_add_f32 v[52:53], v[52:53], v[108:109]
	v_add_u32_e32 v8, 0x17ec, v48
	v_pk_add_f32 v[52:53], v[52:53], v[110:111]
	ds_write2_b32 v8, v53, v52 offset1:1
	ds_write_b32 v48, v10 offset:6132
	v_mov_b32_e32 v2, v53
.LBB0_15:
	s_or_b64 exec, exec, s[66:67]
	v_add_f32_e32 v8, v7, v51
	v_mov_b32_e32 v2, v49
	v_add_f32_e32 v12, v8, v41
	v_mov_b32_e32 v40, v79
	v_mov_b32_e32 v41, v82
	s_mov_b32 s66, s65
	s_mov_b32 s67, s64
	v_pk_add_f32 v[52:53], v[2:3], v[32:33] neg_lo:[0,1] neg_hi:[0,1]
	v_pk_mul_f32 v[102:103], v[40:41], s[66:67]
	v_add_f32_e32 v32, v12, v37
	v_mov_b32_e32 v36, v81
	v_mov_b32_e32 v37, v88
	s_mov_b32 s64, s13
	s_mov_b32 s65, s12
	v_mov_b32_e32 v49, v102
	v_add_f32_e32 v30, v102, v103
	v_pk_mul_f32 v[102:103], v[36:37], s[64:65]
	v_pk_add_f32 v[50:51], v[32:33], v[50:51]
	v_pk_fma_f32 v[40:41], v[40:41], s[66:67], v[48:49] neg_lo:[1,0,0] neg_hi:[1,0,0]
	v_mov_b32_e32 v49, v102
	v_mul_f32_e32 v20, 0x3f62ad3f, v51
	v_pk_fma_f32 v[36:37], v[36:37], s[64:65], v[48:49] neg_lo:[1,0,0] neg_hi:[1,0,0]
	v_pk_add_f32 v[56:57], v[54:55], v[56:57] neg_lo:[0,1] neg_hi:[0,1]
	v_fmac_f32_e32 v20, 0xbeedf032, v52
	v_add_f32_e32 v36, v102, v103
	v_mov_b32_e32 v102, v84
	v_mov_b32_e32 v103, v57
	s_mov_b32 s12, s15
	s_mov_b32 s13, s14
	v_mov_b32_e32 v96, v39
	v_add_f32_e32 v32, v20, v7
	v_mul_f32_e32 v101, 0xbeedf032, v52
	v_pk_mul_f32 v[104:105], v[102:103], s[12:13]
	v_pk_add_f32 v[38:39], v[50:51], v[96:97]
	v_add_f32_e32 v30, v32, v30
	v_mov_b32_e32 v100, v31
	v_mov_b32_e32 v49, v104
	;; [unrolled: 1-line block ×3, first 2 shown]
	v_add_f32_e32 v30, v30, v36
	v_pk_add_f32 v[36:37], v[38:39], v[100:101]
	v_pk_fma_f32 v[38:39], v[50:51], v[96:97], v[100:101] neg_lo:[0,0,1] neg_hi:[0,0,1]
	v_pk_fma_f32 v[102:103], v[102:103], s[12:13], v[48:49] neg_lo:[1,0,0] neg_hi:[1,0,0]
	v_add_f32_e32 v42, v104, v105
	v_mov_b32_e32 v104, v87
	v_mov_b32_e32 v105, v94
	s_mov_b32 s12, s11
	s_mov_b32 s13, s10
	v_mov_b32_e32 v34, v35
	v_mov_b32_e32 v35, v7
	;; [unrolled: 1-line block ×3, first 2 shown]
	v_pk_mul_f32 v[106:107], v[104:105], s[12:13]
	v_mov_b32_e32 v40, v47
	v_pk_add_f32 v[34:35], v[36:37], v[34:35]
	v_mov_b32_e32 v36, v93
	v_mov_b32_e32 v37, v90
	s_mov_b32 s10, s45
	s_mov_b32 s11, s44
	v_mov_b32_e32 v49, v106
	v_add_f32_e32 v30, v30, v42
	v_add_f32_e32 v32, v106, v107
	v_pk_add_f32 v[34:35], v[40:41], v[34:35]
	v_pk_mul_f32 v[38:39], v[36:37], s[10:11]
	v_pk_fma_f32 v[104:105], v[104:105], s[12:13], v[48:49] neg_lo:[1,0,0] neg_hi:[1,0,0]
	v_mov_b32_e32 v102, v45
	v_add_f32_e32 v42, v30, v32
	v_mul_f32_e32 v30, 0xbeb58ec6, v87
	v_pk_add_f32 v[34:35], v[54:55], v[34:35]
	v_mov_b32_e32 v31, v38
	v_mov_b32_e32 v104, v43
	v_pk_add_f32 v[34:35], v[102:103], v[34:35]
	v_pk_fma_f32 v[36:37], v[36:37], s[10:11], v[30:31] neg_lo:[1,0,0] neg_hi:[1,0,0]
	v_pk_add_f32 v[34:35], v[104:105], v[34:35]
	v_mov_b32_e32 v36, v33
	v_pk_add_f32 v[54:55], v[36:37], v[34:35]
	v_pk_mul_f32 v[34:35], v[52:53], s[50:51] op_sel_hi:[0,1]
	v_pk_mul_f32 v[36:37], v[82:83], s[54:55] op_sel_hi:[0,1]
	v_pk_fma_f32 v[96:97], v[50:51], s[48:49], v[34:35] op_sel:[1,0,0] neg_lo:[0,0,1] neg_hi:[0,0,1]
	v_add_f32_e32 v31, v38, v39
	v_pk_fma_f32 v[38:39], v[78:79], s[46:47], v[36:37] op_sel:[1,0,0] neg_lo:[0,0,1] neg_hi:[0,0,1]
	v_pk_mul_f32 v[40:41], v[88:89], s[60:61] op_sel_hi:[0,1]
	v_pk_add_f32 v[96:97], v[96:97], v[6:7] op_sel:[0,1]
	v_add_f32_e32 v49, v42, v31
	v_pk_fma_f32 v[42:43], v[80:81], s[52:53], v[40:41] op_sel:[1,0,0] neg_lo:[0,0,1] neg_hi:[0,0,1]
	v_pk_mul_f32 v[44:45], v[56:57], s[2:3] op_sel:[1,0]
	v_pk_add_f32 v[38:39], v[96:97], v[38:39]
	v_pk_fma_f32 v[46:47], v[84:85], s[36:37], v[44:45] op_sel_hi:[0,1,1] neg_lo:[0,0,1] neg_hi:[0,0,1]
	v_pk_add_f32 v[38:39], v[38:39], v[42:43]
	v_pk_mul_f32 v[42:43], v[94:95], s[6:7] op_sel_hi:[0,1]
	v_pk_add_f32 v[38:39], v[38:39], v[46:47]
	v_pk_fma_f32 v[46:47], v[86:87], s[56:57], v[42:43] op_sel:[1,0,0] neg_lo:[0,0,1] neg_hi:[0,0,1]
	v_pk_fma_f32 v[34:35], v[50:51], s[48:49], v[34:35] op_sel:[1,0,0]
	v_pk_add_f32 v[38:39], v[38:39], v[46:47]
	v_pk_mul_f32 v[46:47], v[90:91], s[62:63] op_sel_hi:[0,1]
	v_pk_fma_f32 v[96:97], v[92:93], s[58:59], v[46:47] op_sel:[1,0,0] neg_lo:[0,0,1] neg_hi:[0,0,1]
	v_pk_fma_f32 v[36:37], v[78:79], s[46:47], v[36:37] op_sel:[1,0,0]
	v_pk_add_f32 v[34:35], v[34:35], v[6:7] op_sel:[0,1]
	v_pk_add_f32 v[96:97], v[38:39], v[96:97]
	v_pk_fma_f32 v[38:39], v[80:81], s[52:53], v[40:41] op_sel:[1,0,0]
	v_pk_add_f32 v[34:35], v[34:35], v[36:37]
	v_pk_fma_f32 v[40:41], v[84:85], s[36:37], v[44:45] op_sel_hi:[0,1,1]
	v_pk_add_f32 v[34:35], v[34:35], v[38:39]
	v_pk_fma_f32 v[36:37], v[86:87], s[56:57], v[42:43] op_sel:[1,0,0]
	v_pk_add_f32 v[34:35], v[34:35], v[40:41]
	v_mul_f32_e32 v2, 0xbe750f2a, v52
	v_pk_add_f32 v[34:35], v[34:35], v[36:37]
	v_pk_fma_f32 v[36:37], v[92:93], s[58:59], v[46:47] op_sel:[1,0,0]
	v_pk_mul_f32 v[40:41], v[88:89], s[30:31] op_sel_hi:[0,1]
	v_pk_add_f32 v[100:101], v[34:35], v[36:37]
	v_pk_mul_f32 v[34:35], v[52:53], s[18:19] op_sel_hi:[0,1]
	v_pk_mul_f32 v[36:37], v[82:83], s[20:21] op_sel_hi:[0,1]
	v_pk_fma_f32 v[52:53], v[50:51], s[22:23], v[34:35] op_sel:[1,0,0] neg_lo:[0,0,1] neg_hi:[0,0,1]
	v_pk_fma_f32 v[38:39], v[78:79], s[16:17], v[36:37] op_sel:[1,0,0] neg_lo:[0,0,1] neg_hi:[0,0,1]
	v_pk_add_f32 v[52:53], v[52:53], v[6:7] op_sel:[0,1]
	v_pk_fma_f32 v[42:43], v[80:81], s[24:25], v[40:41] op_sel:[1,0,0] neg_lo:[0,0,1] neg_hi:[0,0,1]
	v_pk_mul_f32 v[44:45], v[56:57], s[38:39] op_sel:[1,0]
	v_pk_add_f32 v[38:39], v[52:53], v[38:39]
	v_pk_fma_f32 v[46:47], v[84:85], s[26:27], v[44:45] op_sel_hi:[0,1,1] neg_lo:[0,0,1] neg_hi:[0,0,1]
	v_pk_add_f32 v[38:39], v[38:39], v[42:43]
	v_pk_mul_f32 v[42:43], v[94:95], s[40:41] op_sel_hi:[0,1]
	v_pk_add_f32 v[38:39], v[38:39], v[46:47]
	v_pk_fma_f32 v[46:47], v[86:87], s[28:29], v[42:43] op_sel:[1,0,0] neg_lo:[0,0,1] neg_hi:[0,0,1]
	v_pk_fma_f32 v[34:35], v[50:51], s[22:23], v[34:35] op_sel:[1,0,0]
	v_pk_add_f32 v[38:39], v[38:39], v[46:47]
	v_pk_mul_f32 v[46:47], v[90:91], s[42:43] op_sel_hi:[0,1]
	v_pk_fma_f32 v[52:53], v[92:93], s[34:35], v[46:47] op_sel:[1,0,0] neg_lo:[0,0,1] neg_hi:[0,0,1]
	v_pk_fma_f32 v[36:37], v[78:79], s[16:17], v[36:37] op_sel:[1,0,0]
	v_pk_add_f32 v[34:35], v[34:35], v[6:7] op_sel:[0,1]
	v_pk_add_f32 v[52:53], v[38:39], v[52:53]
	v_pk_fma_f32 v[38:39], v[80:81], s[24:25], v[40:41] op_sel:[1,0,0]
	v_pk_add_f32 v[34:35], v[34:35], v[36:37]
	v_mul_f32_e32 v8, 0x3f62ad3f, v79
	v_mul_f32_e32 v10, 0x3eedf032, v82
	v_pk_fma_f32 v[40:41], v[84:85], s[26:27], v[44:45] op_sel_hi:[0,1,1]
	v_pk_add_f32 v[34:35], v[34:35], v[38:39]
	v_mul_f32_e32 v12, 0xbf3f9e67, v81
	v_mul_f32_e32 v14, 0xbf29c268, v88
	v_pk_add_f32 v[34:35], v[34:35], v[40:41]
	v_pk_add_f32 v[38:39], v[8:9], v[10:11] neg_lo:[0,1] neg_hi:[0,1]
	v_pk_add_f32 v[40:41], v[8:9], v[10:11]
	v_mul_f32_e32 v16, 0x3f116cb1, v84
	v_mul_f32_e32 v18, 0x3f52af12, v57
	v_pk_fma_f32 v[36:37], v[86:87], s[28:29], v[42:43] op_sel:[1,0,0]
	v_mov_b32_e32 v39, v40
	v_pk_add_f32 v[40:41], v[12:13], v[14:15] neg_lo:[0,1] neg_hi:[0,1]
	v_pk_add_f32 v[42:43], v[12:13], v[14:15]
	v_mul_f32_e32 v20, 0xbf788fa5, v51
	v_mov_b32_e32 v41, v42
	v_pk_add_f32 v[42:43], v[16:17], v[18:19] neg_lo:[0,1] neg_hi:[0,1]
	v_pk_add_f32 v[44:45], v[16:17], v[18:19]
	v_pk_add_f32 v[34:35], v[34:35], v[36:37]
	v_pk_fma_f32 v[36:37], v[92:93], s[34:35], v[46:47] op_sel:[1,0,0]
	v_mov_b32_e32 v43, v44
	v_pk_add_f32 v[44:45], v[20:21], v[2:3] neg_lo:[0,1] neg_hi:[0,1]
	v_pk_add_f32 v[46:47], v[20:21], v[2:3]
	v_mul_f32_e32 v32, 0xbf6f5d39, v94
	v_mov_b32_e32 v45, v46
	v_pk_add_f32 v[6:7], v[44:45], v[6:7] op_sel:[0,1]
	v_pk_add_f32 v[50:51], v[34:35], v[36:37]
	v_pk_add_f32 v[6:7], v[6:7], v[38:39]
	v_mul_f32_e32 v34, 0x3df6dbef, v93
	v_mul_f32_e32 v36, 0x3f7e222b, v90
	v_pk_add_f32 v[6:7], v[6:7], v[40:41]
	v_pk_add_f32 v[38:39], v[30:31], v[32:33] neg_lo:[0,1] neg_hi:[0,1]
	v_pk_add_f32 v[30:31], v[30:31], v[32:33]
	s_movk_i32 s2, 0xffd0
	v_pk_add_f32 v[6:7], v[6:7], v[42:43]
	v_mov_b32_e32 v39, v30
	v_pk_add_f32 v[30:31], v[34:35], v[36:37] neg_lo:[0,1] neg_hi:[0,1]
	v_pk_add_f32 v[32:33], v[34:35], v[36:37]
	v_mad_i32_i24 v16, v98, s2, v48
	v_add_u32_e32 v18, 0x15f, v98
	v_pk_add_f32 v[6:7], v[6:7], v[38:39]
	v_mov_b32_e32 v31, v32
	v_add_u32_e32 v41, 0x600, v16
	v_add_u32_e32 v8, 0x1200, v16
	;; [unrolled: 1-line block ×5, first 2 shown]
	v_lshl_add_u32 v40, v18, 2, 0
	v_add_u32_e32 v44, 0xe00, v16
	v_pk_add_f32 v[56:57], v[6:7], v[30:31]
	s_waitcnt lgkmcnt(0)
	s_barrier
	ds_read2_b32 v[30:31], v16 offset1:117
	ds_read2_b32 v[6:7], v41 offset0:84 offset1:201
	ds_read2_b32 v[34:35], v8 offset0:18 offset1:135
	;; [unrolled: 1-line block ×3, first 2 shown]
	v_lshl_add_u32 v20, v14, 2, 0
	ds_read2_b32 v[36:37], v43 offset0:124 offset1:241
	ds_read_b32 v12, v40
	ds_read2_b32 v[38:39], v44 offset0:40 offset1:157
	ds_read_b32 v45, v20
	ds_read_b32 v46, v16 offset:6552
	s_waitcnt lgkmcnt(0)
	s_barrier
	ds_write2_b32 v48, v54, v55 offset1:1
	ds_write2_b32 v48, v96, v97 offset0:2 offset1:3
	ds_write2_b32 v48, v52, v53 offset0:4 offset1:5
	;; [unrolled: 1-line block ×4, first 2 shown]
	v_mov_b32_e32 v2, v101
	ds_write2_b32 v48, v101, v100 offset0:10 offset1:11
	ds_write_b32 v48, v49 offset:48
	s_and_saveexec_b64 s[2:3], s[0:1]
	s_cbranch_execz .LBB0_17
; %bb.16:
	v_mov_b32_e32 v2, v21
	v_pk_add_f32 v[50:51], v[2:3], v[4:5]
	s_mov_b32 s7, 0xbf52af12
	v_pk_add_f32 v[26:27], v[50:51], v[26:27]
	v_mov_b32_e32 v50, v65
	v_pk_add_f32 v[24:25], v[26:27], v[24:25]
	v_pk_add_f32 v[26:27], v[4:5], v[28:29] neg_lo:[0,1] neg_hi:[0,1]
	v_mov_b32_e32 v4, v25
	v_mov_b32_e32 v51, v76
	s_mov_b32 s6, 0x3f116cb1
	s_mov_b32 s18, 0x3df6dbef
	v_pk_add_f32 v[4:5], v[4:5], v[22:23]
	v_mov_b32_e32 v91, 0x3f62ad3f
	v_mov_b32_e32 v90, v11
	v_mul_f32_e32 v29, 0xbeedf032, v26
	v_pk_mul_f32 v[52:53], v[50:51], s[6:7]
	v_mov_b32_e32 v54, v67
	v_mov_b32_e32 v55, v74
	s_mov_b32 s19, 0xbf7e222b
	s_mov_b32 s16, 0xbeb58ec6
	v_pk_add_f32 v[92:93], v[4:5], v[90:91]
	v_mov_b32_e32 v28, v9
	v_mov_b32_e32 v21, v52
	v_pk_mul_f32 v[56:57], v[54:55], s[18:19]
	v_mov_b32_e32 v80, v69
	v_mov_b32_e32 v81, v72
	s_mov_b32 s17, 0xbf6f5d39
	v_pk_add_f32 v[92:93], v[92:93], v[28:29]
	v_pk_fma_f32 v[28:29], v[4:5], v[90:91], v[28:29] neg_lo:[0,0,1] neg_hi:[0,0,1]
	v_pk_fma_f32 v[50:51], v[50:51], s[6:7], v[20:21] neg_lo:[1,0,0] neg_hi:[1,0,0]
	v_mov_b32_e32 v21, v56
	s_mov_b32 s14, 0xbf3f9e67
	s_mov_b32 s15, 0xbf29c268
	v_pk_mul_f32 v[82:83], v[80:81], s[16:17]
	v_mov_b32_e32 v86, v63
	v_mov_b32_e32 v87, v70
	v_pk_mul_f32 v[94:95], v[4:5], v[90:91]
	v_mov_b32_e32 v93, v29
	v_pk_fma_f32 v[54:55], v[54:55], s[18:19], v[20:21] neg_lo:[1,0,0] neg_hi:[1,0,0]
	v_mov_b32_e32 v21, v82
	v_pk_mul_f32 v[88:89], v[86:87], s[14:15]
	v_pk_add_f32 v[28:29], v[92:93], v[2:3]
	v_mov_b32_e32 v50, v19
	v_fmac_f32_e32 v95, 0xbeedf032, v26
	v_add_f32_e32 v47, v52, v53
	v_pk_fma_f32 v[80:81], v[80:81], s[16:17], v[20:21] neg_lo:[1,0,0] neg_hi:[1,0,0]
	v_mov_b32_e32 v21, v88
	v_pk_add_f32 v[28:29], v[50:51], v[28:29]
	v_mov_b32_e32 v54, v17
	v_add_f32_e32 v9, v3, v95
	v_add_f32_e32 v49, v56, v57
	v_pk_fma_f32 v[86:87], v[86:87], s[14:15], v[20:21] neg_lo:[1,0,0] neg_hi:[1,0,0]
	v_pk_add_f32 v[28:29], v[54:55], v[28:29]
	v_mov_b32_e32 v80, v15
	v_add_f32_e32 v9, v9, v47
	s_mov_b32 s1, 0xbe750f2a
	v_add_f32_e32 v53, v82, v83
	v_pk_add_f32 v[28:29], v[80:81], v[28:29]
	v_mov_b32_e32 v86, v13
	s_mov_b32 s0, 0xbf788fa5
	v_add_f32_e32 v9, v9, v49
	v_mov_b32_e32 v80, v59
	v_mov_b32_e32 v81, v60
	v_pk_add_f32 v[28:29], v[86:87], v[28:29]
	v_add_f32_e32 v9, v9, v53
	v_add_f32_e32 v11, v88, v89
	v_pk_mul_f32 v[86:87], v[80:81], s[0:1]
	v_add_f32_e32 v11, v9, v11
	v_mov_b32_e32 v9, v86
	v_pk_fma_f32 v[80:81], v[80:81], s[0:1], v[8:9] neg_lo:[1,0,0] neg_hi:[1,0,0]
	s_mov_b32 s22, s7
	v_mov_b32_e32 v80, v23
	s_mov_b32 s23, s19
	s_mov_b32 s27, 0x3f6f5d39
	;; [unrolled: 1-line block ×3, first 2 shown]
	v_pk_add_f32 v[28:29], v[80:81], v[28:29]
	v_pk_mul_f32 v[80:81], v[26:27], s[22:23] op_sel_hi:[0,1]
	s_mov_b32 s24, s17
	s_mov_b32 s25, s1
	v_pk_mul_f32 v[90:91], v[74:75], s[26:27] op_sel_hi:[0,1]
	s_mov_b32 s26, s6
	s_mov_b32 s27, s18
	v_add_f32_e32 v9, v86, v87
	s_mov_b32 s22, s16
	s_mov_b32 s23, s0
	v_pk_mul_f32 v[86:87], v[76:77], s[24:25] op_sel_hi:[0,1]
	v_pk_fma_f32 v[100:101], v[4:5], s[26:27], v[80:81] op_sel:[1,0,0] neg_lo:[0,0,1] neg_hi:[0,0,1]
	s_mov_b32 s11, 0x3eedf032
	v_pk_fma_f32 v[88:89], v[64:65], s[22:23], v[86:87] op_sel:[1,0,0] neg_lo:[0,0,1] neg_hi:[0,0,1]
	s_mov_b32 s24, s0
	s_mov_b32 s25, s16
	;; [unrolled: 1-line block ×3, first 2 shown]
	v_pk_add_f32 v[100:101], v[2:3], v[100:101] op_sel:[1,0]
	v_pk_fma_f32 v[80:81], v[4:5], s[26:27], v[80:81] op_sel:[1,0,0]
	s_mov_b32 s13, 0x3f62ad3f
	v_pk_fma_f32 v[92:93], v[66:67], s[24:25], v[90:91] op_sel:[1,0,0] neg_lo:[0,0,1] neg_hi:[0,0,1]
	s_mov_b32 s12, s14
	v_pk_mul_f32 v[94:95], v[72:73], s[10:11] op_sel_hi:[0,1]
	v_pk_add_f32 v[88:89], v[100:101], v[88:89]
	s_mov_b32 s30, 0x3f7e222b
	s_mov_b32 s31, s7
	v_pk_fma_f32 v[86:87], v[64:65], s[22:23], v[86:87] op_sel:[1,0,0]
	v_pk_add_f32 v[80:81], v[2:3], v[80:81] op_sel:[1,0]
	v_pk_fma_f32 v[96:97], v[68:69], s[12:13], v[94:95] op_sel:[1,0,0] neg_lo:[0,0,1] neg_hi:[0,0,1]
	v_pk_add_f32 v[88:89], v[88:89], v[92:93]
	s_mov_b32 s28, s18
	s_mov_b32 s29, s6
	v_pk_mul_f32 v[92:93], v[70:71], s[30:31] op_sel_hi:[0,1]
	v_pk_fma_f32 v[90:91], v[66:67], s[24:25], v[90:91] op_sel:[1,0,0]
	v_pk_add_f32 v[80:81], v[80:81], v[86:87]
	v_pk_add_f32 v[88:89], v[88:89], v[96:97]
	v_pk_fma_f32 v[96:97], v[62:63], s[28:29], v[92:93] op_sel:[1,0,0] neg_lo:[0,0,1] neg_hi:[0,0,1]
	s_mov_b32 s36, s11
	s_mov_b32 s37, s15
	v_pk_fma_f32 v[94:95], v[68:69], s[12:13], v[94:95] op_sel:[1,0,0]
	v_pk_add_f32 v[80:81], v[80:81], v[90:91]
	s_mov_b32 s22, s17
	s_mov_b32 s23, s15
	;; [unrolled: 1-line block ×4, first 2 shown]
	v_mul_f32_e32 v24, 0xbe750f2a, v26
	v_mul_f32_e32 v78, 0xbf29c268, v74
	v_pk_add_f32 v[88:89], v[88:89], v[96:97]
	s_mov_b32 s34, s13
	s_mov_b32 s35, s14
	v_pk_mul_f32 v[96:97], v[60:61], s[36:37] op_sel_hi:[0,1]
	v_pk_add_f32 v[80:81], v[80:81], v[94:95]
	v_pk_fma_f32 v[86:87], v[62:63], s[28:29], v[92:93] op_sel:[1,0,0]
	v_pk_mul_f32 v[26:27], v[26:27], s[22:23] op_sel_hi:[0,1]
	s_mov_b32 s15, s18
	s_mov_b32 s22, s10
	;; [unrolled: 1-line block ×3, first 2 shown]
	v_pk_mul_f32 v[74:75], v[74:75], s[24:25] op_sel_hi:[0,1]
	s_mov_b32 s24, s18
	s_mov_b32 s26, s19
	;; [unrolled: 1-line block ×4, first 2 shown]
	v_mul_f32_e32 v52, 0x3eedf032, v76
	v_pk_add_f32 v[80:81], v[80:81], v[86:87]
	v_pk_fma_f32 v[86:87], v[58:59], s[34:35], v[96:97] op_sel:[1,0,0]
	v_pk_mul_f32 v[76:77], v[76:77], s[22:23] op_sel_hi:[0,1]
	v_pk_fma_f32 v[94:95], v[4:5], s[18:19], v[26:27] op_sel:[1,0,0] neg_lo:[0,0,1] neg_hi:[0,0,1]
	v_mul_f32_e32 v22, 0xbf788fa5, v5
	v_pk_add_f32 v[80:81], v[80:81], v[86:87]
	v_pk_fma_f32 v[86:87], v[64:65], s[14:15], v[76:77] op_sel:[1,0,0] neg_lo:[0,0,1] neg_hi:[0,0,1]
	s_mov_b32 s22, s13
	s_mov_b32 s23, s6
	;; [unrolled: 1-line block ×3, first 2 shown]
	v_pk_add_f32 v[94:95], v[2:3], v[94:95] op_sel:[1,0]
	v_pk_fma_f32 v[4:5], v[4:5], s[18:19], v[26:27] op_sel:[1,0,0]
	v_mul_f32_e32 v42, 0x3f62ad3f, v65
	v_mul_f32_e32 v84, 0x3f52af12, v72
	v_pk_fma_f32 v[90:91], v[66:67], s[22:23], v[74:75] op_sel:[1,0,0] neg_lo:[0,0,1] neg_hi:[0,0,1]
	s_mov_b32 s25, s0
	v_pk_mul_f32 v[72:73], v[72:73], s[26:27] op_sel_hi:[0,1]
	v_pk_add_f32 v[86:87], v[94:95], v[86:87]
	s_mov_b32 s10, s27
	v_pk_fma_f32 v[64:65], v[64:65], s[14:15], v[76:77] op_sel:[1,0,0]
	v_pk_add_f32 v[4:5], v[2:3], v[4:5] op_sel:[1,0]
	v_mul_f32_e32 v56, 0xbf3f9e67, v67
	v_mul_f32_e32 v54, 0xbf6f5d39, v70
	v_pk_fma_f32 v[92:93], v[68:69], s[24:25], v[72:73] op_sel:[1,0,0] neg_lo:[0,0,1] neg_hi:[0,0,1]
	v_pk_add_f32 v[86:87], v[86:87], v[90:91]
	s_mov_b32 s1, s13
	v_pk_mul_f32 v[70:71], v[70:71], s[10:11] op_sel_hi:[0,1]
	v_pk_fma_f32 v[66:67], v[66:67], s[22:23], v[74:75] op_sel:[1,0,0]
	v_pk_add_f32 v[4:5], v[4:5], v[64:65]
	v_mul_f32_e32 v82, 0x3f116cb1, v69
	s_mov_b32 s20, 0x3f52af12
	v_pk_add_f32 v[86:87], v[86:87], v[92:93]
	v_pk_fma_f32 v[90:91], v[62:63], s[0:1], v[70:71] op_sel:[1,0,0] neg_lo:[0,0,1] neg_hi:[0,0,1]
	s_mov_b32 s21, s17
	v_pk_fma_f32 v[68:69], v[68:69], s[24:25], v[72:73] op_sel:[1,0,0]
	v_pk_add_f32 v[4:5], v[4:5], v[66:67]
	v_pk_add_f32 v[86:87], v[86:87], v[90:91]
	s_mov_b32 s7, s16
	v_pk_mul_f32 v[90:91], v[60:61], s[20:21] op_sel_hi:[0,1]
	v_pk_add_f32 v[4:5], v[4:5], v[68:69]
	v_pk_fma_f32 v[26:27], v[62:63], s[0:1], v[70:71] op_sel:[1,0,0]
	v_pk_fma_f32 v[100:101], v[58:59], s[34:35], v[96:97] op_sel:[1,0,0] neg_lo:[0,0,1] neg_hi:[0,0,1]
	v_pk_fma_f32 v[92:93], v[58:59], s[6:7], v[90:91] op_sel:[1,0,0] neg_lo:[0,0,1] neg_hi:[0,0,1]
	v_pk_add_f32 v[4:5], v[4:5], v[26:27]
	v_pk_fma_f32 v[26:27], v[58:59], s[6:7], v[90:91] op_sel:[1,0,0]
	v_mul_f32_e32 v58, 0x3f7e222b, v60
	v_pk_add_f32 v[60:61], v[42:43], v[52:53] neg_lo:[0,1] neg_hi:[0,1]
	v_pk_add_f32 v[52:53], v[42:43], v[52:53]
	v_mul_f32_e32 v50, 0xbeb58ec6, v63
	v_mov_b32_e32 v61, v52
	v_pk_add_f32 v[52:53], v[56:57], v[78:79] neg_lo:[0,1] neg_hi:[0,1]
	v_pk_add_f32 v[56:57], v[56:57], v[78:79]
	v_pk_add_f32 v[62:63], v[82:83], v[84:85]
	v_mov_b32_e32 v53, v56
	v_pk_add_f32 v[56:57], v[82:83], v[84:85] neg_lo:[0,1] neg_hi:[0,1]
	v_add_f32_e32 v9, v11, v9
	v_mov_b32_e32 v57, v62
	v_pk_add_f32 v[62:63], v[22:23], v[24:25] neg_lo:[0,1] neg_hi:[0,1]
	v_pk_add_f32 v[22:23], v[22:23], v[24:25]
	v_pk_add_f32 v[24:25], v[50:51], v[54:55]
	v_mov_b32_e32 v63, v22
	v_pk_add_f32 v[2:3], v[2:3], v[62:63] op_sel:[1,0]
	v_pk_add_f32 v[22:23], v[50:51], v[54:55] neg_lo:[0,1] neg_hi:[0,1]
	v_pk_add_f32 v[2:3], v[2:3], v[60:61]
	v_pk_add_f32 v[4:5], v[4:5], v[26:27]
	;; [unrolled: 1-line block ×3, first 2 shown]
	v_mul_f32_e32 v26, 0x3df6dbef, v59
	v_pk_add_f32 v[2:3], v[2:3], v[56:57]
	v_mov_b32_e32 v23, v24
	v_add_u32_e32 v11, 0x17c4, v48
	v_pk_add_f32 v[88:89], v[88:89], v[100:101]
	v_pk_add_f32 v[2:3], v[2:3], v[22:23]
	v_pk_add_f32 v[22:23], v[26:27], v[58:59] neg_lo:[0,1] neg_hi:[0,1]
	v_pk_add_f32 v[24:25], v[26:27], v[58:59]
	ds_write2_b32 v11, v28, v29 offset1:1
	v_add_u32_e32 v11, 0x17cc, v48
	v_pk_add_f32 v[86:87], v[86:87], v[92:93]
	v_mov_b32_e32 v23, v24
	ds_write2_b32 v11, v88, v89 offset1:1
	v_add_u32_e32 v11, 0x17d4, v48
	v_pk_add_f32 v[2:3], v[2:3], v[22:23]
	ds_write2_b32 v11, v86, v87 offset1:1
	v_add_u32_e32 v11, 0x17dc, v48
	ds_write2_b32 v11, v2, v3 offset1:1
	v_add_u32_e32 v11, 0x17e4, v48
	ds_write2_b32 v11, v5, v4 offset1:1
	v_add_u32_e32 v4, 0x17ec, v48
	ds_write2_b32 v4, v81, v80 offset1:1
	ds_write_b32 v48, v9 offset:6132
.LBB0_17:
	s_or_b64 exec, exec, s[2:3]
	s_movk_i32 s0, 0x4f
	v_mul_lo_u16_sdwa v2, v98, s0 dst_sel:DWORD dst_unused:UNUSED_PAD src0_sel:BYTE_0 src1_sel:DWORD
	v_lshrrev_b16_e32 v11, 10, v2
	v_add_u32_e32 v42, 0x75, v98
	v_mul_lo_u16_e32 v2, 13, v11
	v_sub_u16_e32 v13, v98, v2
	v_mul_lo_u16_sdwa v2, v42, s0 dst_sel:DWORD dst_unused:UNUSED_PAD src0_sel:BYTE_0 src1_sel:DWORD
	v_lshrrev_b16_e32 v19, 10, v2
	v_mov_b32_e32 v15, 4
	v_mul_lo_u16_e32 v2, 13, v19
	v_lshlrev_b32_sdwa v17, v15, v13 dst_sel:DWORD dst_unused:UNUSED_PAD src0_sel:DWORD src1_sel:BYTE_0
	v_sub_u16_e32 v21, v42, v2
	s_movk_i32 s0, 0x4ec5
	s_waitcnt lgkmcnt(0)
	s_barrier
	v_lshlrev_b32_sdwa v26, v15, v21 dst_sel:DWORD dst_unused:UNUSED_PAD src0_sel:DWORD src1_sel:BYTE_0
	global_load_dwordx4 v[2:5], v17, s[4:5]
	global_load_dwordx4 v[22:25], v26, s[4:5]
	v_mul_u32_u24_sdwa v17, v14, s0 dst_sel:DWORD dst_unused:UNUSED_PAD src0_sel:WORD_0 src1_sel:DWORD
	v_lshrrev_b32_e32 v17, 18, v17
	v_mul_lo_u16_e32 v26, 13, v17
	v_mul_u32_u24_sdwa v27, v18, s0 dst_sel:DWORD dst_unused:UNUSED_PAD src0_sel:WORD_0 src1_sel:DWORD
	v_sub_u16_e32 v47, v14, v26
	v_lshrrev_b32_e32 v68, 18, v27
	v_lshlrev_b32_e32 v26, 4, v47
	v_mul_lo_u16_e32 v27, 13, v68
	v_sub_u16_e32 v69, v18, v27
	global_load_dwordx4 v[26:29], v26, s[4:5]
	v_add_u32_e32 v9, 0x1d4, v98
	v_lshlrev_b32_e32 v48, 4, v69
	global_load_dwordx4 v[48:51], v48, s[4:5]
	v_mul_u32_u24_sdwa v52, v9, s0 dst_sel:DWORD dst_unused:UNUSED_PAD src0_sel:WORD_0 src1_sel:DWORD
	v_lshrrev_b32_e32 v70, 18, v52
	v_mul_lo_u16_e32 v52, 13, v70
	v_sub_u16_e32 v71, v9, v52
	v_lshlrev_b32_e32 v52, 4, v71
	global_load_dwordx4 v[52:55], v52, s[4:5]
	ds_read2_b32 v[56:57], v16 offset1:117
	ds_read2_b32 v[58:59], v41 offset0:84 offset1:201
	ds_read2_b32 v[60:61], v8 offset0:18 offset1:135
	;; [unrolled: 1-line block ×4, first 2 shown]
	ds_read_b32 v72, v40
	ds_read2_b32 v[66:67], v44 offset0:40 offset1:157
	ds_read_b32 v73, v20
	ds_read_b32 v74, v16 offset:6552
	v_mul_u32_u24_e32 v11, 0x9c, v11
	s_mov_b32 s1, 0x5040100
	s_waitcnt lgkmcnt(0)
	s_barrier
	s_movk_i32 s0, 0x9c
	s_waitcnt vmcnt(4)
	v_mul_f32_e32 v75, v59, v3
	v_mul_f32_e32 v76, v60, v5
	;; [unrolled: 1-line block ×4, first 2 shown]
	s_waitcnt vmcnt(3)
	v_mul_f32_e32 v77, v62, v23
	v_mul_f32_e32 v23, v32, v23
	v_fmac_f32_e32 v75, v7, v2
	v_fmac_f32_e32 v76, v34, v4
	v_fma_f32 v2, v59, v2, -v3
	v_fma_f32 v3, v60, v4, -v5
	v_fmac_f32_e32 v77, v32, v22
	s_waitcnt vmcnt(2)
	v_mul_f32_e32 v80, v64, v29
	v_mul_f32_e32 v29, v36, v29
	v_fma_f32 v4, v62, v22, -v23
	v_fmac_f32_e32 v80, v36, v28
	v_fma_f32 v22, v64, v28, -v29
	v_add_f32_e32 v28, v75, v76
	v_mul_f32_e32 v78, v61, v25
	v_mul_f32_e32 v79, v63, v27
	v_mul_f32_e32 v27, v33, v27
	v_fma_f32 v28, -0.5, v28, v30
	v_sub_f32_e32 v29, v2, v3
	v_mul_f32_e32 v25, v35, v25
	v_fmac_f32_e32 v78, v35, v24
	v_fma_f32 v7, v63, v26, -v27
	v_add_f32_e32 v27, v30, v75
	v_fmamk_f32 v30, v29, 0xbf5db3d7, v28
	v_fmac_f32_e32 v28, 0x3f5db3d7, v29
	v_add_f32_e32 v29, v56, v2
	v_add_f32_e32 v2, v2, v3
	v_fma_f32 v5, v61, v24, -v25
	v_add_f32_e32 v29, v29, v3
	v_fma_f32 v32, -0.5, v2, v56
	v_sub_f32_e32 v2, v75, v76
	v_add_f32_e32 v3, v77, v78
	v_fmac_f32_e32 v79, v33, v26
	v_fmamk_f32 v33, v2, 0x3f5db3d7, v32
	v_fmac_f32_e32 v32, 0xbf5db3d7, v2
	v_add_f32_e32 v2, v31, v77
	v_fmac_f32_e32 v31, -0.5, v3
	v_sub_f32_e32 v3, v4, v5
	v_fmamk_f32 v34, v3, 0xbf5db3d7, v31
	v_fmac_f32_e32 v31, 0x3f5db3d7, v3
	v_add_f32_e32 v3, v57, v4
	v_add_f32_e32 v35, v3, v5
	;; [unrolled: 1-line block ×3, first 2 shown]
	v_fmac_f32_e32 v57, -0.5, v3
	v_sub_f32_e32 v3, v77, v78
	v_add_f32_e32 v4, v79, v80
	v_fmamk_f32 v36, v3, 0x3f5db3d7, v57
	v_fmac_f32_e32 v57, 0xbf5db3d7, v3
	v_add_f32_e32 v3, v45, v79
	v_fmac_f32_e32 v45, -0.5, v4
	v_sub_f32_e32 v4, v7, v22
	s_waitcnt vmcnt(1)
	v_mul_f32_e32 v81, v66, v49
	v_mul_f32_e32 v82, v65, v51
	v_fmamk_f32 v5, v4, 0xbf5db3d7, v45
	v_fmac_f32_e32 v45, 0x3f5db3d7, v4
	v_add_f32_e32 v4, v73, v7
	v_mov_b32_e32 v64, 2
	v_mul_f32_e32 v49, v38, v49
	v_mul_f32_e32 v51, v37, v51
	v_fmac_f32_e32 v81, v38, v48
	v_fmac_f32_e32 v82, v37, v50
	v_add_f32_e32 v37, v4, v22
	v_add_f32_e32 v4, v7, v22
	v_lshlrev_b32_sdwa v13, v64, v13 dst_sel:DWORD dst_unused:UNUSED_PAD src0_sel:DWORD src1_sel:BYTE_0
	v_fma_f32 v23, v66, v48, -v49
	v_fma_f32 v24, v65, v50, -v51
	v_fmac_f32_e32 v73, -0.5, v4
	v_sub_f32_e32 v4, v79, v80
	v_add_f32_e32 v7, v81, v82
	v_add3_u32 v11, 0, v11, v13
	v_mul_u32_u24_e32 v13, 0x9c, v19
	v_lshlrev_b32_sdwa v19, v64, v21 dst_sel:DWORD dst_unused:UNUSED_PAD src0_sel:DWORD src1_sel:BYTE_0
	v_add_f32_e32 v27, v27, v76
	v_add_f32_e32 v2, v2, v78
	v_fmamk_f32 v22, v4, 0x3f5db3d7, v73
	v_fmac_f32_e32 v73, 0xbf5db3d7, v4
	v_add_f32_e32 v4, v12, v81
	v_fmac_f32_e32 v12, -0.5, v7
	v_sub_f32_e32 v7, v23, v24
	v_add3_u32 v19, 0, v13, v19
	s_waitcnt vmcnt(0)
	v_mul_f32_e32 v83, v67, v53
	v_mul_f32_e32 v84, v74, v55
	v_fmamk_f32 v38, v7, 0xbf5db3d7, v12
	v_fmac_f32_e32 v12, 0x3f5db3d7, v7
	v_add_f32_e32 v7, v72, v23
	ds_write2_b32 v11, v27, v30 offset1:13
	ds_write_b32 v11, v28 offset:104
	ds_write2_b32 v19, v2, v34 offset1:13
	ds_write_b32 v19, v31 offset:104
	v_perm_b32 v2, v68, v17, s1
	v_mul_f32_e32 v53, v39, v53
	v_mul_f32_e32 v55, v46, v55
	v_fmac_f32_e32 v83, v39, v52
	v_fmac_f32_e32 v84, v46, v54
	v_add_f32_e32 v46, v7, v24
	v_add_f32_e32 v7, v23, v24
	v_pk_mul_lo_u16 v2, v2, s0 op_sel_hi:[1,0]
	v_fma_f32 v25, v67, v52, -v53
	v_fma_f32 v26, v74, v54, -v55
	v_fmac_f32_e32 v72, -0.5, v7
	v_sub_f32_e32 v7, v81, v82
	v_add_f32_e32 v24, v83, v84
	v_and_b32_e32 v13, 0xfffc, v2
	v_lshlrev_b32_e32 v17, 2, v47
	v_add_f32_e32 v3, v3, v80
	v_fmamk_f32 v23, v7, 0x3f5db3d7, v72
	v_fmac_f32_e32 v72, 0xbf5db3d7, v7
	v_add_f32_e32 v7, v6, v83
	v_fmac_f32_e32 v6, -0.5, v24
	v_sub_f32_e32 v24, v25, v26
	v_add3_u32 v17, 0, v13, v17
	v_fmamk_f32 v39, v24, 0xbf5db3d7, v6
	v_fmac_f32_e32 v6, 0x3f5db3d7, v24
	v_add_f32_e32 v24, v58, v25
	v_add_f32_e32 v25, v25, v26
	ds_write2_b32 v17, v3, v5 offset1:13
	ds_write_b32 v17, v45 offset:104
	v_lshrrev_b32_e32 v2, 16, v2
	v_lshlrev_b32_e32 v3, 2, v69
	v_fmac_f32_e32 v58, -0.5, v25
	v_sub_f32_e32 v25, v83, v84
	v_add3_u32 v21, 0, v2, v3
	v_mul_u32_u24_e32 v2, 0x9c, v70
	v_lshlrev_b32_e32 v3, 2, v71
	v_add_f32_e32 v4, v4, v82
	v_add_f32_e32 v7, v7, v84
	v_add_f32_e32 v24, v24, v26
	v_fmamk_f32 v26, v25, 0x3f5db3d7, v58
	v_fmac_f32_e32 v58, 0xbf5db3d7, v25
	v_add3_u32 v25, 0, v2, v3
	s_movk_i32 s0, 0xa5
	ds_write2_b32 v21, v4, v38 offset1:13
	ds_write_b32 v21, v12 offset:104
	ds_write2_b32 v25, v7, v39 offset1:13
	ds_write_b32 v25, v6 offset:104
	s_waitcnt lgkmcnt(0)
	s_barrier
	ds_read2_b32 v[4:5], v16 offset1:117
	ds_read2_b32 v[2:3], v41 offset0:84 offset1:201
	ds_read2_b32 v[6:7], v8 offset0:18 offset1:135
	;; [unrolled: 1-line block ×4, first 2 shown]
	ds_read_b32 v45, v40
	ds_read2_b32 v[50:51], v44 offset0:40 offset1:157
	ds_read_b32 v65, v20
	ds_read_b32 v66, v16 offset:6552
	s_waitcnt lgkmcnt(0)
	s_barrier
	ds_write2_b32 v11, v29, v33 offset1:13
	ds_write_b32 v11, v32 offset:104
	ds_write2_b32 v19, v35, v36 offset1:13
	ds_write_b32 v19, v57 offset:104
	;; [unrolled: 2-line block ×5, first 2 shown]
	v_mul_lo_u16_sdwa v11, v98, s0 dst_sel:DWORD dst_unused:UNUSED_PAD src0_sel:BYTE_0 src1_sel:DWORD
	v_sub_u16_sdwa v17, v98, v11 dst_sel:DWORD dst_unused:UNUSED_PAD src0_sel:DWORD src1_sel:BYTE_1
	v_mul_lo_u16_sdwa v21, v42, s0 dst_sel:DWORD dst_unused:UNUSED_PAD src0_sel:BYTE_0 src1_sel:DWORD
	s_mov_b32 s0, 0xa41b
	v_lshrrev_b16_e32 v17, 1, v17
	v_mul_u32_u24_sdwa v46, v9, s0 dst_sel:DWORD dst_unused:UNUSED_PAD src0_sel:WORD_0 src1_sel:DWORD
	v_and_b32_e32 v17, 0x7f, v17
	v_sub_u16_sdwa v47, v9, v46 dst_sel:DWORD dst_unused:UNUSED_PAD src0_sel:DWORD src1_sel:WORD_1
	v_add_u16_sdwa v11, v17, v11 dst_sel:DWORD dst_unused:UNUSED_PAD src0_sel:DWORD src1_sel:BYTE_1
	v_sub_u16_sdwa v22, v42, v21 dst_sel:DWORD dst_unused:UNUSED_PAD src0_sel:DWORD src1_sel:BYTE_1
	v_lshrrev_b16_e32 v47, 1, v47
	v_lshrrev_b16_e32 v11, 5, v11
	;; [unrolled: 1-line block ×3, first 2 shown]
	v_mul_u32_u24_sdwa v34, v18, s0 dst_sel:DWORD dst_unused:UNUSED_PAD src0_sel:WORD_0 src1_sel:DWORD
	v_add_u16_sdwa v46, v47, v46 dst_sel:DWORD dst_unused:UNUSED_PAD src0_sel:DWORD src1_sel:WORD_1
	v_and_b32_e32 v11, 7, v11
	v_and_b32_e32 v22, 0x7f, v22
	v_sub_u16_sdwa v35, v18, v34 dst_sel:DWORD dst_unused:UNUSED_PAD src0_sel:DWORD src1_sel:WORD_1
	v_lshrrev_b16_e32 v70, 5, v46
	v_mul_lo_u16_e32 v17, 39, v11
	v_add_u16_sdwa v21, v22, v21 dst_sel:DWORD dst_unused:UNUSED_PAD src0_sel:DWORD src1_sel:BYTE_1
	v_lshrrev_b16_e32 v35, 1, v35
	v_mul_lo_u16_e32 v46, 39, v70
	v_sub_u16_e32 v17, v98, v17
	v_lshrrev_b16_e32 v21, 5, v21
	v_add_u16_sdwa v34, v35, v34 dst_sel:DWORD dst_unused:UNUSED_PAD src0_sel:DWORD src1_sel:WORD_1
	v_sub_u16_e32 v71, v9, v46
	v_lshlrev_b32_sdwa v19, v15, v17 dst_sel:DWORD dst_unused:UNUSED_PAD src0_sel:DWORD src1_sel:BYTE_0
	v_and_b32_e32 v21, 7, v21
	v_lshrrev_b16_e32 v68, 5, v34
	v_lshlrev_b32_e32 v46, 4, v71
	s_waitcnt lgkmcnt(0)
	s_barrier
	global_load_dwordx4 v[22:25], v19, s[4:5] offset:208
	v_mul_lo_u16_e32 v34, 39, v68
	global_load_dwordx4 v[46:49], v46, s[4:5] offset:208
	v_mul_lo_u16_e32 v19, 39, v21
	v_sub_u16_e32 v19, v42, v19
	v_sub_u16_e32 v69, v18, v34
	v_lshlrev_b32_sdwa v15, v15, v19 dst_sel:DWORD dst_unused:UNUSED_PAD src0_sel:DWORD src1_sel:BYTE_0
	v_lshlrev_b32_e32 v34, 4, v69
	global_load_dwordx4 v[26:29], v15, s[4:5] offset:208
	v_lshlrev_b32_sdwa v17, v64, v17 dst_sel:DWORD dst_unused:UNUSED_PAD src0_sel:DWORD src1_sel:BYTE_0
	global_load_dwordx4 v[34:37], v34, s[4:5] offset:208
	v_mul_u32_u24_sdwa v15, v14, s0 dst_sel:DWORD dst_unused:UNUSED_PAD src0_sel:WORD_0 src1_sel:DWORD
	v_sub_u16_sdwa v30, v14, v15 dst_sel:DWORD dst_unused:UNUSED_PAD src0_sel:DWORD src1_sel:WORD_1
	v_lshrrev_b16_e32 v30, 1, v30
	v_add_u16_sdwa v15, v30, v15 dst_sel:DWORD dst_unused:UNUSED_PAD src0_sel:DWORD src1_sel:WORD_1
	v_lshrrev_b16_e32 v15, 5, v15
	v_mul_lo_u16_e32 v30, 39, v15
	v_sub_u16_e32 v67, v14, v30
	v_lshlrev_b32_e32 v30, 4, v67
	global_load_dwordx4 v[30:33], v30, s[4:5] offset:208
	ds_read2_b32 v[52:53], v16 offset1:117
	ds_read2_b32 v[54:55], v41 offset0:84 offset1:201
	ds_read2_b32 v[56:57], v8 offset0:18 offset1:135
	;; [unrolled: 1-line block ×4, first 2 shown]
	ds_read_b32 v72, v40
	ds_read2_b32 v[62:63], v44 offset0:40 offset1:157
	ds_read_b32 v73, v20
	ds_read_b32 v74, v16 offset:6552
	s_movk_i32 s0, 0x1d4
	v_mul_u32_u24_sdwa v11, v11, s0 dst_sel:DWORD dst_unused:UNUSED_PAD src0_sel:WORD_0 src1_sel:DWORD
	v_add3_u32 v11, 0, v11, v17
	s_waitcnt lgkmcnt(0)
	s_barrier
	v_lshlrev_b32_sdwa v17, v64, v19 dst_sel:DWORD dst_unused:UNUSED_PAD src0_sel:DWORD src1_sel:BYTE_0
	s_waitcnt vmcnt(4)
	v_mul_f32_e32 v75, v55, v23
	v_fmac_f32_e32 v75, v3, v22
	v_mul_f32_e32 v3, v3, v23
	v_fma_f32 v3, v55, v22, -v3
	v_mul_f32_e32 v22, v56, v25
	v_fmac_f32_e32 v22, v6, v24
	v_mul_f32_e32 v6, v6, v25
	v_fma_f32 v6, v56, v24, -v6
	s_waitcnt vmcnt(2)
	v_mul_f32_e32 v23, v58, v27
	v_fmac_f32_e32 v23, v12, v26
	v_mul_f32_e32 v12, v12, v27
	v_mul_f32_e32 v24, v57, v29
	v_fma_f32 v12, v58, v26, -v12
	v_fmac_f32_e32 v24, v7, v28
	v_mul_f32_e32 v7, v7, v29
	v_fma_f32 v7, v57, v28, -v7
	s_waitcnt vmcnt(1)
	v_mul_f32_e32 v28, v62, v35
	v_fmac_f32_e32 v28, v50, v34
	v_mul_f32_e32 v29, v50, v35
	s_waitcnt vmcnt(0)
	v_mul_f32_e32 v25, v59, v31
	v_fmac_f32_e32 v25, v13, v30
	v_mul_f32_e32 v13, v13, v31
	v_fma_f32 v13, v59, v30, -v13
	v_mul_f32_e32 v30, v61, v37
	v_mul_f32_e32 v31, v39, v37
	v_add_f32_e32 v37, v75, v22
	v_mul_f32_e32 v26, v60, v33
	v_fmac_f32_e32 v30, v39, v36
	v_fma_f32 v31, v61, v36, -v31
	v_add_f32_e32 v36, v4, v75
	v_fma_f32 v4, -0.5, v37, v4
	v_sub_f32_e32 v37, v3, v6
	v_fmac_f32_e32 v26, v38, v32
	v_mul_f32_e32 v27, v38, v33
	v_fmamk_f32 v38, v37, 0xbf5db3d7, v4
	v_fmac_f32_e32 v4, 0x3f5db3d7, v37
	v_add_f32_e32 v37, v52, v3
	v_add_f32_e32 v3, v3, v6
	;; [unrolled: 1-line block ×3, first 2 shown]
	v_fma_f32 v3, -0.5, v3, v52
	v_sub_f32_e32 v6, v75, v22
	v_add_f32_e32 v37, v23, v24
	v_add_f32_e32 v36, v36, v22
	v_fmamk_f32 v22, v6, 0x3f5db3d7, v3
	v_fmac_f32_e32 v3, 0xbf5db3d7, v6
	v_add_f32_e32 v6, v5, v23
	v_fmac_f32_e32 v5, -0.5, v37
	v_sub_f32_e32 v37, v12, v7
	v_fma_f32 v27, v60, v32, -v27
	v_mul_f32_e32 v32, v63, v47
	v_fmamk_f32 v39, v37, 0xbf5db3d7, v5
	v_fmac_f32_e32 v5, 0x3f5db3d7, v37
	v_add_f32_e32 v37, v53, v12
	v_fmac_f32_e32 v32, v51, v46
	v_mul_f32_e32 v33, v51, v47
	v_add_f32_e32 v51, v37, v7
	v_add_f32_e32 v7, v12, v7
	v_fmac_f32_e32 v53, -0.5, v7
	v_sub_f32_e32 v7, v23, v24
	v_add_f32_e32 v23, v25, v26
	v_fmamk_f32 v12, v7, 0x3f5db3d7, v53
	v_fmac_f32_e32 v53, 0xbf5db3d7, v7
	v_add_f32_e32 v7, v65, v25
	v_fmac_f32_e32 v65, -0.5, v23
	v_sub_f32_e32 v23, v13, v27
	v_add_f32_e32 v6, v6, v24
	v_fmamk_f32 v24, v23, 0xbf5db3d7, v65
	v_fmac_f32_e32 v65, 0x3f5db3d7, v23
	v_add_f32_e32 v23, v73, v13
	v_add_f32_e32 v13, v13, v27
	v_fma_f32 v29, v62, v34, -v29
	v_add_f32_e32 v7, v7, v26
	v_fmac_f32_e32 v73, -0.5, v13
	v_sub_f32_e32 v13, v25, v26
	v_add_f32_e32 v26, v28, v30
	ds_write2_b32 v11, v36, v38 offset1:39
	ds_write_b32 v11, v4 offset:312
	v_mul_u32_u24_sdwa v4, v21, s0 dst_sel:DWORD dst_unused:UNUSED_PAD src0_sel:WORD_0 src1_sel:DWORD
	v_mul_f32_e32 v34, v74, v49
	v_fmamk_f32 v25, v13, 0x3f5db3d7, v73
	v_fmac_f32_e32 v73, 0xbf5db3d7, v13
	v_add_f32_e32 v13, v45, v28
	v_fmac_f32_e32 v45, -0.5, v26
	v_sub_f32_e32 v26, v29, v31
	v_add3_u32 v4, 0, v4, v17
	v_fmac_f32_e32 v34, v66, v48
	v_mul_f32_e32 v35, v66, v49
	v_add_f32_e32 v23, v23, v27
	v_fmamk_f32 v27, v26, 0xbf5db3d7, v45
	v_fmac_f32_e32 v45, 0x3f5db3d7, v26
	v_add_f32_e32 v26, v72, v29
	v_add_f32_e32 v29, v29, v31
	ds_write2_b32 v4, v6, v39 offset1:39
	ds_write_b32 v4, v5 offset:312
	v_mul_u32_u24_e32 v5, 0x1d4, v15
	v_lshlrev_b32_e32 v6, 2, v67
	v_fma_f32 v33, v63, v46, -v33
	v_fma_f32 v35, v74, v48, -v35
	v_add_f32_e32 v13, v13, v30
	v_fmac_f32_e32 v72, -0.5, v29
	v_sub_f32_e32 v28, v28, v30
	v_add_f32_e32 v30, v32, v34
	v_add3_u32 v5, 0, v5, v6
	v_fmamk_f32 v29, v28, 0x3f5db3d7, v72
	v_fmac_f32_e32 v72, 0xbf5db3d7, v28
	v_add_f32_e32 v28, v2, v32
	v_fmac_f32_e32 v2, -0.5, v30
	v_sub_f32_e32 v30, v33, v35
	ds_write2_b32 v5, v7, v24 offset1:39
	ds_write_b32 v5, v65 offset:312
	v_mul_u32_u24_e32 v6, 0x1d4, v68
	v_lshlrev_b32_e32 v7, 2, v69
	v_add_f32_e32 v26, v26, v31
	v_fmamk_f32 v31, v30, 0xbf5db3d7, v2
	v_fmac_f32_e32 v2, 0x3f5db3d7, v30
	v_add_f32_e32 v30, v54, v33
	v_add_f32_e32 v33, v33, v35
	v_add3_u32 v15, 0, v6, v7
	v_mul_u32_u24_e32 v6, 0x1d4, v70
	v_lshlrev_b32_e32 v7, 2, v71
	v_add_f32_e32 v28, v28, v34
	v_fmac_f32_e32 v54, -0.5, v33
	v_sub_f32_e32 v32, v32, v34
	ds_write2_b32 v15, v13, v27 offset1:39
	ds_write_b32 v15, v45 offset:312
	v_add3_u32 v13, 0, v6, v7
	s_mov_b32 s0, 0x8c09
	v_add_f32_e32 v30, v30, v35
	v_fmamk_f32 v33, v32, 0x3f5db3d7, v54
	v_fmac_f32_e32 v54, 0xbf5db3d7, v32
	ds_write2_b32 v13, v28, v31 offset1:39
	ds_write_b32 v13, v2 offset:312
	s_waitcnt lgkmcnt(0)
	s_barrier
	ds_read2_b32 v[6:7], v16 offset1:117
	ds_read2_b32 v[34:35], v41 offset0:84 offset1:201
	ds_read2_b32 v[36:37], v8 offset0:18 offset1:135
	;; [unrolled: 1-line block ×4, first 2 shown]
	ds_read_b32 v17, v40
	ds_read2_b32 v[48:49], v44 offset0:40 offset1:157
	ds_read_b32 v21, v20
	ds_read_b32 v45, v16 offset:6552
	s_waitcnt lgkmcnt(0)
	s_barrier
	ds_write2_b32 v11, v50, v22 offset1:39
	ds_write_b32 v11, v3 offset:312
	ds_write2_b32 v4, v51, v12 offset1:39
	ds_write_b32 v4, v53 offset:312
	;; [unrolled: 2-line block ×5, first 2 shown]
	v_mul_u32_u24_sdwa v11, v14, s0 dst_sel:DWORD dst_unused:UNUSED_PAD src0_sel:WORD_0 src1_sel:DWORD
	v_lshrrev_b32_e32 v11, 22, v11
	v_mul_lo_u16_e32 v11, 0x75, v11
	v_lshlrev_b32_e32 v12, 1, v98
	v_mov_b32_e32 v13, 0
	v_sub_u16_e32 v11, v14, v11
	v_lshl_add_u64 v[2:3], v[12:13], 3, s[4:5]
	v_lshlrev_b32_e32 v12, 4, v11
	s_waitcnt lgkmcnt(0)
	s_barrier
	global_load_dwordx4 v[2:5], v[2:3], off offset:832
	s_nop 0
	global_load_dwordx4 v[22:25], v12, s[4:5] offset:832
	v_mul_u32_u24_sdwa v12, v18, s0 dst_sel:DWORD dst_unused:UNUSED_PAD src0_sel:WORD_0 src1_sel:DWORD
	v_lshrrev_b32_e32 v12, 22, v12
	v_mul_lo_u16_e32 v12, 0x75, v12
	v_sub_u16_e32 v12, v18, v12
	v_lshlrev_b32_e32 v15, 4, v12
	global_load_dwordx4 v[26:29], v15, s[4:5] offset:832
	v_mul_u32_u24_sdwa v15, v9, s0 dst_sel:DWORD dst_unused:UNUSED_PAD src0_sel:WORD_0 src1_sel:DWORD
	v_lshrrev_b32_e32 v15, 22, v15
	v_mul_lo_u16_e32 v15, 0x75, v15
	v_sub_u16_e32 v15, v9, v15
	v_lshlrev_b32_e32 v18, 4, v15
	global_load_dwordx4 v[30:33], v18, s[4:5] offset:832
	ds_read2_b32 v[50:51], v16 offset1:117
	ds_read2_b32 v[52:53], v41 offset0:84 offset1:201
	ds_read2_b32 v[18:19], v8 offset0:18 offset1:135
	;; [unrolled: 1-line block ×4, first 2 shown]
	ds_read_b32 v60, v40
	ds_read2_b32 v[58:59], v44 offset0:40 offset1:157
	ds_read_b32 v61, v20
	ds_read_b32 v62, v16 offset:6552
	s_waitcnt lgkmcnt(0)
	s_barrier
	v_lshl_add_u32 v12, v12, 2, 0
	v_lshl_add_u32 v15, v15, 2, 0
	s_waitcnt vmcnt(3)
	v_mul_f32_e32 v63, v53, v3
	v_fmac_f32_e32 v63, v35, v2
	v_mul_f32_e32 v35, v35, v3
	v_fma_f32 v35, v53, v2, -v35
	v_mul_f32_e32 v53, v18, v5
	v_fmac_f32_e32 v53, v36, v4
	v_mul_f32_e32 v36, v36, v5
	v_fma_f32 v18, v18, v4, -v36
	v_mul_f32_e32 v36, v54, v3
	v_mul_f32_e32 v3, v38, v3
	v_fmac_f32_e32 v36, v38, v2
	v_fma_f32 v2, v54, v2, -v3
	v_mul_f32_e32 v3, v19, v5
	v_mul_f32_e32 v5, v37, v5
	v_fmac_f32_e32 v3, v37, v4
	v_fma_f32 v4, v19, v4, -v5
	s_waitcnt vmcnt(2)
	v_mul_f32_e32 v5, v55, v23
	v_mul_f32_e32 v19, v39, v23
	v_fmac_f32_e32 v5, v39, v22
	v_fma_f32 v19, v55, v22, -v19
	v_mul_f32_e32 v22, v56, v25
	v_mul_f32_e32 v23, v46, v25
	v_fmac_f32_e32 v22, v46, v24
	v_fma_f32 v23, v56, v24, -v23
	s_waitcnt vmcnt(1)
	;; [unrolled: 9-line block ×3, first 2 shown]
	v_mul_f32_e32 v28, v59, v31
	v_mul_f32_e32 v29, v49, v31
	v_fmac_f32_e32 v28, v49, v30
	v_fma_f32 v29, v59, v30, -v29
	v_mul_f32_e32 v30, v62, v33
	v_mul_f32_e32 v31, v45, v33
	v_add_f32_e32 v33, v63, v53
	v_fmac_f32_e32 v30, v45, v32
	v_fma_f32 v31, v62, v32, -v31
	v_add_f32_e32 v32, v6, v63
	v_fma_f32 v6, -0.5, v33, v6
	v_sub_f32_e32 v33, v35, v18
	v_fmamk_f32 v37, v33, 0xbf5db3d7, v6
	v_fmac_f32_e32 v6, 0x3f5db3d7, v33
	v_add_f32_e32 v33, v50, v35
	v_add_f32_e32 v33, v33, v18
	;; [unrolled: 1-line block ×3, first 2 shown]
	v_fma_f32 v35, -0.5, v18, v50
	v_sub_f32_e32 v18, v63, v53
	v_add_f32_e32 v39, v36, v3
	v_fmamk_f32 v38, v18, 0x3f5db3d7, v35
	v_fmac_f32_e32 v35, 0xbf5db3d7, v18
	v_add_f32_e32 v18, v7, v36
	v_fmac_f32_e32 v7, -0.5, v39
	v_sub_f32_e32 v39, v2, v4
	v_fmamk_f32 v45, v39, 0xbf5db3d7, v7
	v_fmac_f32_e32 v7, 0x3f5db3d7, v39
	v_add_f32_e32 v39, v51, v2
	v_add_f32_e32 v2, v2, v4
	;; [unrolled: 1-line block ×3, first 2 shown]
	v_fmac_f32_e32 v51, -0.5, v2
	v_sub_f32_e32 v2, v36, v3
	v_add_f32_e32 v4, v5, v22
	v_add_f32_e32 v18, v18, v3
	v_fmamk_f32 v3, v2, 0x3f5db3d7, v51
	v_fmac_f32_e32 v51, 0xbf5db3d7, v2
	v_add_f32_e32 v2, v21, v5
	v_fmac_f32_e32 v21, -0.5, v4
	v_sub_f32_e32 v4, v19, v23
	v_fmamk_f32 v36, v4, 0xbf5db3d7, v21
	v_fmac_f32_e32 v21, 0x3f5db3d7, v4
	v_add_f32_e32 v4, v61, v19
	v_add_f32_e32 v46, v4, v23
	;; [unrolled: 1-line block ×3, first 2 shown]
	v_fmac_f32_e32 v61, -0.5, v4
	v_sub_f32_e32 v4, v5, v22
	v_add_f32_e32 v5, v24, v26
	v_fmamk_f32 v47, v4, 0x3f5db3d7, v61
	v_fmac_f32_e32 v61, 0xbf5db3d7, v4
	v_add_f32_e32 v4, v17, v24
	v_fmac_f32_e32 v17, -0.5, v5
	v_sub_f32_e32 v5, v25, v27
	v_fmamk_f32 v19, v5, 0xbf5db3d7, v17
	v_fmac_f32_e32 v17, 0x3f5db3d7, v5
	v_add_f32_e32 v5, v60, v25
	v_add_f32_e32 v48, v5, v27
	v_add_f32_e32 v5, v25, v27
	v_add_f32_e32 v2, v2, v22
	v_fmac_f32_e32 v60, -0.5, v5
	v_sub_f32_e32 v5, v24, v26
	v_add_f32_e32 v22, v28, v30
	v_fmamk_f32 v24, v5, 0x3f5db3d7, v60
	v_fmac_f32_e32 v60, 0xbf5db3d7, v5
	v_add_f32_e32 v5, v34, v28
	v_fmac_f32_e32 v34, -0.5, v22
	v_sub_f32_e32 v22, v29, v31
	v_fmamk_f32 v23, v22, 0xbf5db3d7, v34
	v_fmac_f32_e32 v34, 0x3f5db3d7, v22
	v_add_f32_e32 v22, v52, v29
	v_add_f32_e32 v32, v32, v53
	v_add_f32_e32 v25, v22, v31
	v_add_f32_e32 v22, v29, v31
	v_lshl_add_u32 v31, v11, 2, 0
	ds_write2_b32 v16, v32, v37 offset1:117
	v_add_u32_e32 v27, 0x200, v16
	v_add_u32_e32 v32, 0xa00, v31
	v_add_f32_e32 v4, v4, v26
	ds_write2_b32 v27, v6, v18 offset0:106 offset1:223
	ds_write2_b32 v41, v45, v7 offset0:84 offset1:201
	;; [unrolled: 1-line block ×3, first 2 shown]
	ds_write_b32 v31, v21 offset:3744
	v_add_u32_e32 v21, 0x1000, v12
	v_add_f32_e32 v5, v5, v30
	v_fmac_f32_e32 v52, -0.5, v22
	v_sub_f32_e32 v22, v28, v30
	ds_write2_b32 v21, v4, v19 offset0:29 offset1:146
	ds_write_b32 v12, v17 offset:5148
	v_add_u32_e32 v17, 0x1400, v15
	v_fmamk_f32 v26, v22, 0x3f5db3d7, v52
	v_fmac_f32_e32 v52, 0xbf5db3d7, v22
	ds_write2_b32 v17, v5, v23 offset0:124 offset1:241
	ds_write_b32 v15, v34 offset:6552
	s_waitcnt lgkmcnt(0)
	s_barrier
	ds_read2_b32 v[18:19], v16 offset1:117
	ds_read2_b32 v[28:29], v10 offset0:62 offset1:179
	ds_read2_b32 v[4:5], v44 offset0:40 offset1:157
	ds_read2_b32 v[22:23], v43 offset0:124 offset1:241
	ds_read2_b32 v[10:11], v41 offset0:84 offset1:201
	ds_read2_b32 v[6:7], v8 offset0:18 offset1:135
	ds_read_b32 v30, v40
	ds_read_b32 v2, v20
	ds_read_b32 v8, v16 offset:6552
	s_waitcnt lgkmcnt(0)
	s_barrier
	ds_write2_b32 v16, v33, v38 offset1:117
	ds_write2_b32 v27, v35, v39 offset0:106 offset1:223
	ds_write2_b32 v41, v3, v51 offset0:84 offset1:201
	;; [unrolled: 1-line block ×3, first 2 shown]
	ds_write_b32 v31, v61 offset:3744
	ds_write2_b32 v21, v48, v24 offset0:29 offset1:146
	ds_write_b32 v12, v60 offset:5148
	ds_write2_b32 v17, v25, v26 offset0:124 offset1:241
	ds_write_b32 v15, v52 offset:6552
	s_waitcnt lgkmcnt(0)
	s_barrier
	s_and_saveexec_b64 s[0:1], vcc
	s_cbranch_execz .LBB0_19
; %bb.18:
	v_lshlrev_b32_e32 v12, 2, v14
	v_lshl_add_u64 v[14:15], v[12:13], 3, s[4:5]
	v_lshlrev_b32_e32 v12, 2, v42
	v_lshl_add_u64 v[52:53], v[12:13], 3, s[4:5]
	;; [unrolled: 2-line block ×3, first 2 shown]
	global_load_dwordx4 v[32:35], v[12:13], off offset:2704
	global_load_dwordx4 v[36:39], v[12:13], off offset:2720
	v_mad_u64_u32 v[54:55], s[0:1], s8, v98, 0
	v_add_u32_e32 v47, 0x15f, v98
	v_add_u32_e32 v49, 0x2be, v98
	;; [unrolled: 1-line block ×4, first 2 shown]
	v_mov_b32_e32 v60, v18
	v_mov_b32_e32 v18, v55
	v_mad_u64_u32 v[66:67], s[2:3], s8, v47, 0
	v_mad_u64_u32 v[68:69], s[2:3], s8, v49, 0
	;; [unrolled: 1-line block ×4, first 2 shown]
	v_add_u32_e32 v13, 0x600, v16
	v_add_u32_e32 v17, 0xe00, v16
	v_mad_u64_u32 v[44:45], s[2:3], s9, v98, v[18:19]
	v_mov_b32_e32 v18, v67
	v_mov_b32_e32 v46, v69
	;; [unrolled: 1-line block ×4, first 2 shown]
	v_add_u32_e32 v31, 0x1200, v16
	v_add_u32_e32 v41, 0xa00, v16
	;; [unrolled: 1-line block ×3, first 2 shown]
	ds_read2_b32 v[26:27], v16 offset1:117
	ds_read_b32 v12, v16 offset:6552
	ds_read_b32 v3, v20
	ds_read_b32 v40, v40
	ds_read2_b32 v[24:25], v13 offset0:84 offset1:201
	ds_read2_b32 v[20:21], v17 offset0:40 offset1:157
	;; [unrolled: 1-line block ×5, first 2 shown]
	v_mov_b32_e32 v55, v44
	v_mad_u64_u32 v[74:75], s[2:3], s9, v47, v[18:19]
	v_mad_u64_u32 v[76:77], s[2:3], s9, v49, v[46:47]
	;; [unrolled: 1-line block ×4, first 2 shown]
	global_load_dwordx4 v[44:47], v[52:53], off offset:2720
	global_load_dwordx4 v[48:51], v[52:53], off offset:2704
	v_mov_b32_e32 v67, v74
	v_mov_b32_e32 v69, v76
	;; [unrolled: 1-line block ×4, first 2 shown]
	s_waitcnt lgkmcnt(3)
	v_mov_b32_e32 v18, v21
	v_mov_b32_e32 v56, v5
	;; [unrolled: 1-line block ×3, first 2 shown]
	v_lshl_add_u64 v[52:53], v[54:55], 3, v[0:1]
	v_lshl_add_u64 v[54:55], v[66:67], 3, v[0:1]
	;; [unrolled: 1-line block ×5, first 2 shown]
	v_mov_b32_e32 v61, v26
	s_mov_b32 s2, 0x3f737871
	s_mov_b32 s4, 0x3f167918
	s_movk_i32 s1, 0x57c
	s_mov_b32 s0, 0x3e9e377a
	v_add_u32_e32 v5, 0x333, v98
	v_mov_b32_e32 v26, v19
	s_waitcnt vmcnt(3)
	v_pk_mul_f32 v[40:41], v[40:41], v[32:33] op_sel_hi:[0,1]
	s_waitcnt vmcnt(2) lgkmcnt(0)
	v_pk_mul_f32 v[72:73], v[64:65], v[38:39] op_sel_hi:[0,1]
	v_pk_mul_f32 v[74:75], v[62:63], v[34:35] op_sel_hi:[0,1]
	;; [unrolled: 1-line block ×3, first 2 shown]
	v_pk_fma_f32 v[78:79], v[30:31], v[32:33], v[40:41] op_sel:[0,0,1] op_sel_hi:[1,1,0]
	v_pk_fma_f32 v[30:31], v[30:31], v[32:33], v[40:41] op_sel:[0,0,1] op_sel_hi:[0,1,0] neg_lo:[1,0,0] neg_hi:[1,0,0]
	v_pk_fma_f32 v[32:33], v[22:23], v[38:39], v[72:73] op_sel:[0,0,1] op_sel_hi:[1,1,0]
	v_pk_fma_f32 v[38:39], v[22:23], v[38:39], v[72:73] op_sel:[0,0,1] op_sel_hi:[0,1,0] neg_lo:[1,0,0] neg_hi:[1,0,0]
	;; [unrolled: 2-line block ×4, first 2 shown]
	v_mov_b32_e32 v79, v31
	v_mov_b32_e32 v33, v39
	;; [unrolled: 1-line block ×4, first 2 shown]
	v_pk_add_f32 v[30:31], v[78:79], v[40:41] neg_lo:[0,1] neg_hi:[0,1]
	v_pk_add_f32 v[34:35], v[32:33], v[56:57] neg_lo:[0,1] neg_hi:[0,1]
	v_pk_add_f32 v[36:37], v[40:41], v[56:57]
	v_pk_add_f32 v[30:31], v[30:31], v[34:35]
	v_pk_fma_f32 v[34:35], v[36:37], 0.5, v[60:61] op_sel_hi:[1,0,1] neg_lo:[1,0,0] neg_hi:[1,0,0]
	v_pk_add_f32 v[36:37], v[78:79], v[32:33] neg_lo:[0,1] neg_hi:[0,1]
	v_pk_add_f32 v[58:59], v[40:41], v[56:57] neg_lo:[0,1] neg_hi:[0,1]
	v_pk_fma_f32 v[38:39], v[36:37], s[2:3], v[34:35] op_sel:[1,0,0] op_sel_hi:[0,0,1]
	v_pk_fma_f32 v[34:35], v[36:37], s[2:3], v[34:35] op_sel:[1,0,0] op_sel_hi:[0,0,1] neg_lo:[1,0,0] neg_hi:[1,0,0]
	v_pk_add_f32 v[74:75], v[60:61], v[78:79]
	v_pk_fma_f32 v[34:35], v[58:59], s[4:5], v[34:35] op_sel:[1,0,0] op_sel_hi:[0,0,1] neg_lo:[1,0,0] neg_hi:[1,0,0]
	v_pk_fma_f32 v[38:39], v[58:59], s[4:5], v[38:39] op_sel:[1,0,0] op_sel_hi:[0,0,1]
	v_pk_add_f32 v[74:75], v[74:75], v[40:41]
	v_mov_b32_e32 v72, v38
	v_mov_b32_e32 v73, v35
	v_pk_add_f32 v[74:75], v[74:75], v[56:57]
	v_mov_b32_e32 v35, v39
	v_pk_fma_f32 v[72:73], v[30:31], s[0:1], v[72:73] op_sel_hi:[1,0,1]
	v_pk_add_f32 v[74:75], v[32:33], v[74:75]
	v_pk_fma_f32 v[30:31], v[30:31], s[0:1], v[34:35] op_sel_hi:[1,0,1]
	v_pk_add_f32 v[34:35], v[56:57], v[32:33] neg_lo:[0,1] neg_hi:[0,1]
	v_pk_add_f32 v[32:33], v[78:79], v[32:33]
	global_store_dwordx2 v[52:53], v[74:75], off
	global_store_dwordx2 v[54:55], v[30:31], off
	v_pk_add_f32 v[30:31], v[40:41], v[78:79] neg_lo:[0,1] neg_hi:[0,1]
	v_pk_fma_f32 v[32:33], v[32:33], 0.5, v[60:61] op_sel_hi:[1,0,1] neg_lo:[1,0,0] neg_hi:[1,0,0]
	v_pk_add_f32 v[30:31], v[30:31], v[34:35]
	v_pk_fma_f32 v[34:35], v[58:59], s[2:3], v[32:33] op_sel:[1,0,0] op_sel_hi:[0,0,1] neg_lo:[1,0,0] neg_hi:[1,0,0]
	v_pk_fma_f32 v[32:33], v[58:59], s[2:3], v[32:33] op_sel:[1,0,0] op_sel_hi:[0,0,1]
	v_pk_fma_f32 v[32:33], v[36:37], s[4:5], v[32:33] op_sel:[1,0,0] op_sel_hi:[0,0,1] neg_lo:[1,0,0] neg_hi:[1,0,0]
	v_pk_fma_f32 v[34:35], v[36:37], s[4:5], v[34:35] op_sel:[1,0,0] op_sel_hi:[0,0,1]
	v_mov_b32_e32 v36, v34
	v_mov_b32_e32 v37, v33
	;; [unrolled: 1-line block ×3, first 2 shown]
	v_pk_fma_f32 v[36:37], v[30:31], s[0:1], v[36:37] op_sel_hi:[1,0,1]
	v_pk_fma_f32 v[30:31], v[30:31], s[0:1], v[32:33] op_sel_hi:[1,0,1]
	global_store_dwordx2 v[66:67], v[30:31], off
	global_store_dwordx2 v[68:69], v[36:37], off
	global_store_dwordx2 v[70:71], v[72:73], off
	v_mad_u64_u32 v[30:31], s[6:7], s8, v42, 0
	v_mov_b32_e32 v18, v31
	v_mad_u64_u32 v[32:33], s[6:7], s9, v42, v[18:19]
	v_mov_b32_e32 v31, v32
	v_lshl_add_u64 v[36:37], v[30:31], 3, v[0:1]
	v_mad_u64_u32 v[30:31], s[6:7], s8, v9, 0
	v_mov_b32_e32 v18, v31
	v_mad_u64_u32 v[32:33], s[6:7], s9, v9, v[18:19]
	v_mov_b32_e32 v31, v32
	v_lshl_add_u64 v[38:39], v[30:31], 3, v[0:1]
	v_mad_u64_u32 v[30:31], s[6:7], s8, v5, 0
	v_mov_b32_e32 v18, v31
	v_mad_u64_u32 v[32:33], s[6:7], s9, v5, v[18:19]
	v_mov_b32_e32 v31, v32
	v_add_u32_e32 v5, 0x492, v98
	v_lshl_add_u64 v[40:41], v[30:31], 3, v[0:1]
	v_mad_u64_u32 v[30:31], s[6:7], s8, v5, 0
	v_mov_b32_e32 v18, v31
	v_mad_u64_u32 v[32:33], s[6:7], s9, v5, v[18:19]
	v_mov_b32_e32 v31, v32
	v_add_u32_e32 v5, 0x5f1, v98
	v_lshl_add_u64 v[42:43], v[30:31], 3, v[0:1]
	v_mad_u64_u32 v[30:31], s[6:7], s8, v5, 0
	v_mov_b32_e32 v18, v31
	v_mad_u64_u32 v[32:33], s[6:7], s9, v5, v[18:19]
	v_mov_b32_e32 v31, v32
	v_mov_b32_e32 v18, v63
	v_lshl_add_u64 v[52:53], v[30:31], 3, v[0:1]
	s_waitcnt vmcnt(5)
	v_pk_mul_f32 v[30:31], v[18:19], v[50:51] op_sel_hi:[0,1]
	v_mov_b32_e32 v18, v29
	v_pk_fma_f32 v[54:55], v[18:19], v[50:51], v[30:31] op_sel:[0,0,1] op_sel_hi:[1,1,0]
	v_pk_fma_f32 v[28:29], v[18:19], v[50:51], v[30:31] op_sel:[0,0,1] op_sel_hi:[0,1,0] neg_lo:[1,0,0] neg_hi:[1,0,0]
	v_mov_b32_e32 v55, v29
	v_pk_mul_f32 v[28:29], v[16:17], v[44:45] op_sel_hi:[0,1]
	v_pk_fma_f32 v[50:51], v[6:7], v[44:45], v[28:29] op_sel:[0,0,1] op_sel_hi:[1,1,0]
	v_pk_fma_f32 v[28:29], v[6:7], v[44:45], v[28:29] op_sel:[0,0,1] op_sel_hi:[0,1,0] neg_lo:[1,0,0] neg_hi:[1,0,0]
	v_mov_b32_e32 v51, v29
	v_pk_mul_f32 v[28:29], v[24:25], v[48:49] op_sel_hi:[0,1]
	v_pk_fma_f32 v[44:45], v[10:11], v[48:49], v[28:29] op_sel:[0,0,1] op_sel_hi:[1,1,0]
	v_pk_fma_f32 v[28:29], v[10:11], v[48:49], v[28:29] op_sel:[0,0,1] op_sel_hi:[0,1,0] neg_lo:[1,0,0] neg_hi:[1,0,0]
	v_mov_b32_e32 v6, v65
	v_mov_b32_e32 v45, v29
	v_pk_mul_f32 v[28:29], v[6:7], v[46:47] op_sel_hi:[0,1]
	v_mov_b32_e32 v6, v23
	v_pk_fma_f32 v[48:49], v[6:7], v[46:47], v[28:29] op_sel:[0,0,1] op_sel_hi:[1,1,0]
	v_pk_fma_f32 v[22:23], v[6:7], v[46:47], v[28:29] op_sel:[0,0,1] op_sel_hi:[0,1,0] neg_lo:[1,0,0] neg_hi:[1,0,0]
	v_mov_b32_e32 v49, v23
	v_pk_add_f32 v[28:29], v[44:45], v[54:55] neg_lo:[0,1] neg_hi:[0,1]
	v_pk_add_f32 v[30:31], v[48:49], v[50:51] neg_lo:[0,1] neg_hi:[0,1]
	v_pk_add_f32 v[22:23], v[54:55], v[50:51]
	v_pk_add_f32 v[56:57], v[28:29], v[30:31]
	global_load_dwordx4 v[28:31], v[14:15], off offset:2720
	global_load_dwordx4 v[32:35], v[14:15], off offset:2704
	v_pk_fma_f32 v[18:19], v[22:23], 0.5, v[26:27] op_sel_hi:[1,0,1] neg_lo:[1,0,0] neg_hi:[1,0,0]
	v_pk_add_f32 v[22:23], v[44:45], v[48:49] neg_lo:[0,1] neg_hi:[0,1]
	v_pk_add_f32 v[46:47], v[54:55], v[50:51] neg_lo:[0,1] neg_hi:[0,1]
	v_pk_fma_f32 v[58:59], v[22:23], s[2:3], v[18:19] op_sel:[1,0,0] op_sel_hi:[0,0,1]
	v_pk_fma_f32 v[14:15], v[22:23], s[2:3], v[18:19] op_sel:[1,0,0] op_sel_hi:[0,0,1] neg_lo:[1,0,0] neg_hi:[1,0,0]
	v_pk_add_f32 v[60:61], v[26:27], v[44:45]
	v_pk_fma_f32 v[14:15], v[46:47], s[4:5], v[14:15] op_sel:[1,0,0] op_sel_hi:[0,0,1] neg_lo:[1,0,0] neg_hi:[1,0,0]
	v_pk_fma_f32 v[18:19], v[46:47], s[4:5], v[58:59] op_sel:[1,0,0] op_sel_hi:[0,0,1]
	v_pk_add_f32 v[60:61], v[60:61], v[54:55]
	v_mov_b32_e32 v59, v15
	v_pk_add_f32 v[60:61], v[60:61], v[50:51]
	v_mov_b32_e32 v15, v19
	v_pk_add_f32 v[60:61], v[48:49], v[60:61]
	v_pk_fma_f32 v[14:15], v[56:57], s[0:1], v[14:15] op_sel_hi:[1,0,1]
	global_store_dwordx2 v[36:37], v[60:61], off
	global_store_dwordx2 v[38:39], v[14:15], off
	v_pk_add_f32 v[14:15], v[44:45], v[48:49]
	v_mov_b32_e32 v58, v18
	v_pk_fma_f32 v[14:15], v[14:15], 0.5, v[26:27] op_sel_hi:[1,0,1] neg_lo:[1,0,0] neg_hi:[1,0,0]
	v_pk_add_f32 v[18:19], v[54:55], v[44:45] neg_lo:[0,1] neg_hi:[0,1]
	v_pk_add_f32 v[26:27], v[50:51], v[48:49] neg_lo:[0,1] neg_hi:[0,1]
	v_add_u32_e32 v5, 0xea, v98
	v_pk_add_f32 v[18:19], v[18:19], v[26:27]
	v_pk_fma_f32 v[26:27], v[46:47], s[2:3], v[14:15] op_sel:[1,0,0] op_sel_hi:[0,0,1] neg_lo:[1,0,0] neg_hi:[1,0,0]
	v_pk_fma_f32 v[14:15], v[46:47], s[2:3], v[14:15] op_sel:[1,0,0] op_sel_hi:[0,0,1]
	s_mov_b32 s3, 0x756cac21
	v_mul_hi_u32 v6, v5, s3
	v_sub_u32_e32 v9, v5, v6
	v_lshrrev_b32_e32 v9, 1, v9
	v_pk_fma_f32 v[14:15], v[22:23], s[4:5], v[14:15] op_sel:[1,0,0] op_sel_hi:[0,0,1] neg_lo:[1,0,0] neg_hi:[1,0,0]
	v_pk_fma_f32 v[22:23], v[22:23], s[4:5], v[26:27] op_sel:[1,0,0] op_sel_hi:[0,0,1]
	v_add_u32_e32 v6, v9, v6
	v_mov_b32_e32 v27, v15
	v_mov_b32_e32 v15, v23
	v_lshrrev_b32_e32 v6, 8, v6
	v_mov_b32_e32 v26, v22
	v_pk_fma_f32 v[14:15], v[18:19], s[0:1], v[14:15] op_sel_hi:[1,0,1]
	v_mad_u32_u24 v5, v6, s1, v5
	v_pk_fma_f32 v[58:59], v[56:57], s[0:1], v[58:59] op_sel_hi:[1,0,1]
	v_pk_fma_f32 v[26:27], v[18:19], s[0:1], v[26:27] op_sel_hi:[1,0,1]
	global_store_dwordx2 v[40:41], v[14:15], off
	global_store_dwordx2 v[42:43], v[26:27], off
	;; [unrolled: 1-line block ×3, first 2 shown]
	v_mad_u64_u32 v[14:15], s[6:7], s8, v5, 0
	v_mov_b32_e32 v6, v15
	v_mad_u64_u32 v[18:19], s[6:7], s9, v5, v[6:7]
	v_add_u32_e32 v9, 0x15f, v5
	v_mov_b32_e32 v15, v18
	v_mad_u64_u32 v[18:19], s[6:7], s8, v9, 0
	v_mov_b32_e32 v6, v19
	v_mad_u64_u32 v[22:23], s[6:7], s9, v9, v[6:7]
	v_add_u32_e32 v9, 0x2be, v5
	v_mov_b32_e32 v19, v22
	;; [unrolled: 5-line block ×4, first 2 shown]
	v_mad_u64_u32 v[36:37], s[6:7], s8, v5, 0
	v_mov_b32_e32 v6, v37
	v_mad_u64_u32 v[38:39], s[6:7], s9, v5, v[6:7]
	v_mov_b32_e32 v6, v25
	v_mov_b32_e32 v37, v38
	v_lshl_add_u64 v[14:15], v[14:15], 3, v[0:1]
	v_lshl_add_u64 v[18:19], v[18:19], 3, v[0:1]
	;; [unrolled: 1-line block ×3, first 2 shown]
	s_waitcnt vmcnt(5)
	v_pk_mul_f32 v[24:25], v[6:7], v[32:33] op_sel_hi:[0,1]
	v_mov_b32_e32 v6, v11
	v_lshl_add_u64 v[26:27], v[26:27], 3, v[0:1]
	v_lshl_add_u64 v[0:1], v[36:37], 3, v[0:1]
	v_pk_fma_f32 v[36:37], v[6:7], v[32:33], v[24:25] op_sel:[0,0,1] op_sel_hi:[1,1,0]
	v_pk_fma_f32 v[10:11], v[6:7], v[32:33], v[24:25] op_sel:[0,0,1] op_sel_hi:[0,1,0] neg_lo:[1,0,0] neg_hi:[1,0,0]
	v_mov_b32_e32 v37, v11
	v_pk_mul_f32 v[10:11], v[12:13], v[30:31] op_sel_hi:[0,1]
	v_pk_fma_f32 v[12:13], v[8:9], v[30:31], v[10:11] op_sel:[0,0,1] op_sel_hi:[1,1,0]
	v_pk_fma_f32 v[8:9], v[8:9], v[30:31], v[10:11] op_sel:[0,0,1] op_sel_hi:[0,1,0] neg_lo:[1,0,0] neg_hi:[1,0,0]
	v_mov_b32_e32 v13, v9
	v_pk_mul_f32 v[8:9], v[20:21], v[34:35] op_sel_hi:[0,1]
	v_pk_fma_f32 v[10:11], v[4:5], v[34:35], v[8:9] op_sel:[0,0,1] op_sel_hi:[1,1,0]
	v_pk_fma_f32 v[4:5], v[4:5], v[34:35], v[8:9] op_sel:[0,0,1] op_sel_hi:[0,1,0] neg_lo:[1,0,0] neg_hi:[1,0,0]
	v_mov_b32_e32 v4, v17
	v_mov_b32_e32 v11, v5
	v_pk_mul_f32 v[4:5], v[4:5], v[28:29] op_sel_hi:[0,1]
	v_mov_b32_e32 v6, v7
	v_pk_fma_f32 v[8:9], v[6:7], v[28:29], v[4:5] op_sel:[0,0,1] op_sel_hi:[1,1,0]
	v_pk_fma_f32 v[4:5], v[6:7], v[28:29], v[4:5] op_sel:[0,0,1] op_sel_hi:[0,1,0] neg_lo:[1,0,0] neg_hi:[1,0,0]
	v_mov_b32_e32 v9, v5
	v_pk_add_f32 v[4:5], v[36:37], v[10:11] neg_lo:[0,1] neg_hi:[0,1]
	v_pk_add_f32 v[6:7], v[12:13], v[8:9] neg_lo:[0,1] neg_hi:[0,1]
	;; [unrolled: 1-line block ×3, first 2 shown]
	v_pk_add_f32 v[4:5], v[4:5], v[6:7]
	v_pk_add_f32 v[6:7], v[10:11], v[8:9]
	v_pk_add_f32 v[24:25], v[10:11], v[8:9] neg_lo:[0,1] neg_hi:[0,1]
	v_pk_fma_f32 v[6:7], v[6:7], 0.5, v[2:3] op_sel_hi:[1,0,1] neg_lo:[1,0,0] neg_hi:[1,0,0]
	v_pk_add_f32 v[30:31], v[2:3], v[36:37]
	v_pk_fma_f32 v[20:21], v[16:17], s[2:3], v[6:7] op_sel:[1,0,0] op_sel_hi:[0,0,1]
	v_pk_fma_f32 v[6:7], v[16:17], s[2:3], v[6:7] op_sel:[1,0,0] op_sel_hi:[0,0,1] neg_lo:[1,0,0] neg_hi:[1,0,0]
	v_pk_fma_f32 v[6:7], v[24:25], s[4:5], v[6:7] op_sel:[1,0,0] op_sel_hi:[0,0,1] neg_lo:[1,0,0] neg_hi:[1,0,0]
	v_pk_fma_f32 v[20:21], v[24:25], s[4:5], v[20:21] op_sel:[1,0,0] op_sel_hi:[0,0,1]
	v_pk_add_f32 v[30:31], v[30:31], v[10:11]
	v_mov_b32_e32 v28, v20
	v_mov_b32_e32 v29, v7
	v_pk_add_f32 v[30:31], v[30:31], v[8:9]
	v_mov_b32_e32 v7, v21
	v_pk_fma_f32 v[28:29], v[4:5], s[0:1], v[28:29] op_sel_hi:[1,0,1]
	v_pk_add_f32 v[30:31], v[12:13], v[30:31]
	v_pk_fma_f32 v[4:5], v[4:5], s[0:1], v[6:7] op_sel_hi:[1,0,1]
	global_store_dwordx2 v[14:15], v[30:31], off
	global_store_dwordx2 v[18:19], v[4:5], off
	v_pk_add_f32 v[4:5], v[10:11], v[36:37] neg_lo:[0,1] neg_hi:[0,1]
	v_pk_add_f32 v[6:7], v[8:9], v[12:13] neg_lo:[0,1] neg_hi:[0,1]
	s_nop 0
	v_pk_add_f32 v[4:5], v[4:5], v[6:7]
	v_pk_add_f32 v[6:7], v[36:37], v[12:13]
	s_nop 0
	v_pk_fma_f32 v[2:3], v[6:7], 0.5, v[2:3] op_sel_hi:[1,0,1] neg_lo:[1,0,0] neg_hi:[1,0,0]
	s_nop 0
	v_pk_fma_f32 v[6:7], v[24:25], s[2:3], v[2:3] op_sel:[1,0,0] op_sel_hi:[0,0,1] neg_lo:[1,0,0] neg_hi:[1,0,0]
	v_pk_fma_f32 v[2:3], v[24:25], s[2:3], v[2:3] op_sel:[1,0,0] op_sel_hi:[0,0,1]
	v_pk_fma_f32 v[2:3], v[16:17], s[4:5], v[2:3] op_sel:[1,0,0] op_sel_hi:[0,0,1] neg_lo:[1,0,0] neg_hi:[1,0,0]
	v_pk_fma_f32 v[6:7], v[16:17], s[4:5], v[6:7] op_sel:[1,0,0] op_sel_hi:[0,0,1]
	v_mov_b32_e32 v9, v3
	v_mov_b32_e32 v3, v7
	;; [unrolled: 1-line block ×3, first 2 shown]
	v_pk_fma_f32 v[2:3], v[4:5], s[0:1], v[2:3] op_sel_hi:[1,0,1]
	v_pk_fma_f32 v[8:9], v[4:5], s[0:1], v[8:9] op_sel_hi:[1,0,1]
	global_store_dwordx2 v[22:23], v[2:3], off
	global_store_dwordx2 v[26:27], v[8:9], off
	;; [unrolled: 1-line block ×3, first 2 shown]
.LBB0_19:
	s_endpgm
	.section	.rodata,"a",@progbits
	.p2align	6, 0x0
	.amdhsa_kernel fft_rtc_back_len1755_factors_13_3_3_3_5_wgs_117_tpt_117_halfLds_sp_ip_CI_sbrr_dirReg
		.amdhsa_group_segment_fixed_size 0
		.amdhsa_private_segment_fixed_size 0
		.amdhsa_kernarg_size 88
		.amdhsa_user_sgpr_count 2
		.amdhsa_user_sgpr_dispatch_ptr 0
		.amdhsa_user_sgpr_queue_ptr 0
		.amdhsa_user_sgpr_kernarg_segment_ptr 1
		.amdhsa_user_sgpr_dispatch_id 0
		.amdhsa_user_sgpr_kernarg_preload_length 0
		.amdhsa_user_sgpr_kernarg_preload_offset 0
		.amdhsa_user_sgpr_private_segment_size 0
		.amdhsa_uses_dynamic_stack 0
		.amdhsa_enable_private_segment 0
		.amdhsa_system_sgpr_workgroup_id_x 1
		.amdhsa_system_sgpr_workgroup_id_y 0
		.amdhsa_system_sgpr_workgroup_id_z 0
		.amdhsa_system_sgpr_workgroup_info 0
		.amdhsa_system_vgpr_workitem_id 0
		.amdhsa_next_free_vgpr 144
		.amdhsa_next_free_sgpr 68
		.amdhsa_accum_offset 144
		.amdhsa_reserve_vcc 1
		.amdhsa_float_round_mode_32 0
		.amdhsa_float_round_mode_16_64 0
		.amdhsa_float_denorm_mode_32 3
		.amdhsa_float_denorm_mode_16_64 3
		.amdhsa_dx10_clamp 1
		.amdhsa_ieee_mode 1
		.amdhsa_fp16_overflow 0
		.amdhsa_tg_split 0
		.amdhsa_exception_fp_ieee_invalid_op 0
		.amdhsa_exception_fp_denorm_src 0
		.amdhsa_exception_fp_ieee_div_zero 0
		.amdhsa_exception_fp_ieee_overflow 0
		.amdhsa_exception_fp_ieee_underflow 0
		.amdhsa_exception_fp_ieee_inexact 0
		.amdhsa_exception_int_div_zero 0
	.end_amdhsa_kernel
	.text
.Lfunc_end0:
	.size	fft_rtc_back_len1755_factors_13_3_3_3_5_wgs_117_tpt_117_halfLds_sp_ip_CI_sbrr_dirReg, .Lfunc_end0-fft_rtc_back_len1755_factors_13_3_3_3_5_wgs_117_tpt_117_halfLds_sp_ip_CI_sbrr_dirReg
                                        ; -- End function
	.section	.AMDGPU.csdata,"",@progbits
; Kernel info:
; codeLenInByte = 14148
; NumSgprs: 74
; NumVgprs: 144
; NumAgprs: 0
; TotalNumVgprs: 144
; ScratchSize: 0
; MemoryBound: 0
; FloatMode: 240
; IeeeMode: 1
; LDSByteSize: 0 bytes/workgroup (compile time only)
; SGPRBlocks: 9
; VGPRBlocks: 17
; NumSGPRsForWavesPerEU: 74
; NumVGPRsForWavesPerEU: 144
; AccumOffset: 144
; Occupancy: 3
; WaveLimiterHint : 1
; COMPUTE_PGM_RSRC2:SCRATCH_EN: 0
; COMPUTE_PGM_RSRC2:USER_SGPR: 2
; COMPUTE_PGM_RSRC2:TRAP_HANDLER: 0
; COMPUTE_PGM_RSRC2:TGID_X_EN: 1
; COMPUTE_PGM_RSRC2:TGID_Y_EN: 0
; COMPUTE_PGM_RSRC2:TGID_Z_EN: 0
; COMPUTE_PGM_RSRC2:TIDIG_COMP_CNT: 0
; COMPUTE_PGM_RSRC3_GFX90A:ACCUM_OFFSET: 35
; COMPUTE_PGM_RSRC3_GFX90A:TG_SPLIT: 0
	.text
	.p2alignl 6, 3212836864
	.fill 256, 4, 3212836864
	.type	__hip_cuid_fbdd17e846f36a0d,@object ; @__hip_cuid_fbdd17e846f36a0d
	.section	.bss,"aw",@nobits
	.globl	__hip_cuid_fbdd17e846f36a0d
__hip_cuid_fbdd17e846f36a0d:
	.byte	0                               ; 0x0
	.size	__hip_cuid_fbdd17e846f36a0d, 1

	.ident	"AMD clang version 19.0.0git (https://github.com/RadeonOpenCompute/llvm-project roc-6.4.0 25133 c7fe45cf4b819c5991fe208aaa96edf142730f1d)"
	.section	".note.GNU-stack","",@progbits
	.addrsig
	.addrsig_sym __hip_cuid_fbdd17e846f36a0d
	.amdgpu_metadata
---
amdhsa.kernels:
  - .agpr_count:     0
    .args:
      - .actual_access:  read_only
        .address_space:  global
        .offset:         0
        .size:           8
        .value_kind:     global_buffer
      - .offset:         8
        .size:           8
        .value_kind:     by_value
      - .actual_access:  read_only
        .address_space:  global
        .offset:         16
        .size:           8
        .value_kind:     global_buffer
      - .actual_access:  read_only
        .address_space:  global
        .offset:         24
        .size:           8
        .value_kind:     global_buffer
      - .offset:         32
        .size:           8
        .value_kind:     by_value
      - .actual_access:  read_only
        .address_space:  global
        .offset:         40
        .size:           8
        .value_kind:     global_buffer
      - .actual_access:  read_only
        .address_space:  global
        .offset:         48
        .size:           8
        .value_kind:     global_buffer
      - .offset:         56
        .size:           4
        .value_kind:     by_value
      - .actual_access:  read_only
        .address_space:  global
        .offset:         64
        .size:           8
        .value_kind:     global_buffer
      - .actual_access:  read_only
        .address_space:  global
        .offset:         72
        .size:           8
        .value_kind:     global_buffer
      - .address_space:  global
        .offset:         80
        .size:           8
        .value_kind:     global_buffer
    .group_segment_fixed_size: 0
    .kernarg_segment_align: 8
    .kernarg_segment_size: 88
    .language:       OpenCL C
    .language_version:
      - 2
      - 0
    .max_flat_workgroup_size: 117
    .name:           fft_rtc_back_len1755_factors_13_3_3_3_5_wgs_117_tpt_117_halfLds_sp_ip_CI_sbrr_dirReg
    .private_segment_fixed_size: 0
    .sgpr_count:     74
    .sgpr_spill_count: 0
    .symbol:         fft_rtc_back_len1755_factors_13_3_3_3_5_wgs_117_tpt_117_halfLds_sp_ip_CI_sbrr_dirReg.kd
    .uniform_work_group_size: 1
    .uses_dynamic_stack: false
    .vgpr_count:     144
    .vgpr_spill_count: 0
    .wavefront_size: 64
amdhsa.target:   amdgcn-amd-amdhsa--gfx950
amdhsa.version:
  - 1
  - 2
...

	.end_amdgpu_metadata
